;; amdgpu-corpus repo=ROCm/rocSPARSE kind=compiled arch=gfx1250 opt=O3
	.amdgcn_target "amdgcn-amd-amdhsa--gfx1250"
	.amdhsa_code_object_version 6
	.section	.text._ZN9rocsparseL22gebsrmvn_mxn_16_kernelILj52ELj13ELj1EfEEvi20rocsparse_direction_NS_24const_host_device_scalarIT2_EEPKiS6_PKS3_iiS8_S4_PS3_21rocsparse_index_base_b,"axG",@progbits,_ZN9rocsparseL22gebsrmvn_mxn_16_kernelILj52ELj13ELj1EfEEvi20rocsparse_direction_NS_24const_host_device_scalarIT2_EEPKiS6_PKS3_iiS8_S4_PS3_21rocsparse_index_base_b,comdat
	.globl	_ZN9rocsparseL22gebsrmvn_mxn_16_kernelILj52ELj13ELj1EfEEvi20rocsparse_direction_NS_24const_host_device_scalarIT2_EEPKiS6_PKS3_iiS8_S4_PS3_21rocsparse_index_base_b ; -- Begin function _ZN9rocsparseL22gebsrmvn_mxn_16_kernelILj52ELj13ELj1EfEEvi20rocsparse_direction_NS_24const_host_device_scalarIT2_EEPKiS6_PKS3_iiS8_S4_PS3_21rocsparse_index_base_b
	.p2align	8
	.type	_ZN9rocsparseL22gebsrmvn_mxn_16_kernelILj52ELj13ELj1EfEEvi20rocsparse_direction_NS_24const_host_device_scalarIT2_EEPKiS6_PKS3_iiS8_S4_PS3_21rocsparse_index_base_b,@function
_ZN9rocsparseL22gebsrmvn_mxn_16_kernelILj52ELj13ELj1EfEEvi20rocsparse_direction_NS_24const_host_device_scalarIT2_EEPKiS6_PKS3_iiS8_S4_PS3_21rocsparse_index_base_b: ; @_ZN9rocsparseL22gebsrmvn_mxn_16_kernelILj52ELj13ELj1EfEEvi20rocsparse_direction_NS_24const_host_device_scalarIT2_EEPKiS6_PKS3_iiS8_S4_PS3_21rocsparse_index_base_b
; %bb.0:
	s_clause 0x2
	s_load_b64 s[14:15], s[0:1], 0x48
	s_load_b64 s[8:9], s[0:1], 0x8
	;; [unrolled: 1-line block ×3, first 2 shown]
	s_wait_kmcnt 0x0
	s_bitcmp1_b32 s15, 0
	s_cselect_b32 s4, -1, 0
	s_delay_alu instid0(SALU_CYCLE_1)
	s_and_b32 vcc_lo, exec_lo, s4
	s_xor_b32 s4, s4, -1
	s_cbranch_vccnz .LBB0_2
; %bb.1:
	s_load_b32 s8, s[8:9], 0x0
.LBB0_2:
	s_and_not1_b32 vcc_lo, exec_lo, s4
	s_cbranch_vccnz .LBB0_4
; %bb.3:
	s_load_b32 s2, s[2:3], 0x0
.LBB0_4:
	s_wait_kmcnt 0x0
	s_cmp_eq_f32 s8, 0
	s_cselect_b32 s3, -1, 0
	s_cmp_eq_f32 s2, 1.0
	s_cselect_b32 s4, -1, 0
	s_delay_alu instid0(SALU_CYCLE_1) | instskip(NEXT) | instid1(SALU_CYCLE_1)
	s_and_b32 s3, s3, s4
	s_and_b32 vcc_lo, exec_lo, s3
	s_cbranch_vccnz .LBB0_20
; %bb.5:
	s_load_b64 s[4:5], s[0:1], 0x10
	s_bfe_u32 s3, ttmp6, 0x4000c
	s_and_b32 s6, ttmp6, 15
	s_add_co_i32 s3, s3, 1
	s_getreg_b32 s7, hwreg(HW_REG_IB_STS2, 6, 4)
	s_mul_i32 s3, ttmp9, s3
	s_delay_alu instid0(SALU_CYCLE_1) | instskip(SKIP_2) | instid1(SALU_CYCLE_1)
	s_add_co_i32 s6, s6, s3
	s_cmp_eq_u32 s7, 0
	s_cselect_b32 s12, ttmp9, s6
	s_ashr_i32 s13, s12, 31
	s_delay_alu instid0(SALU_CYCLE_1)
	s_lshl_b64 s[6:7], s[12:13], 2
	s_wait_kmcnt 0x0
	s_add_nc_u64 s[4:5], s[4:5], s[6:7]
	s_load_b64 s[18:19], s[4:5], 0x0
	s_wait_kmcnt 0x0
	s_cmp_lt_i32 s18, s19
	s_cbranch_scc1 .LBB0_7
; %bb.6:
	s_load_b64 s[10:11], s[0:1], 0x40
	v_mov_b32_e32 v1, 0
	s_cbranch_execz .LBB0_8
	s_branch .LBB0_12
.LBB0_7:
	s_load_b64 s[10:11], s[0:1], 0x40
	v_mov_b32_e32 v1, 0
.LBB0_8:
	s_clause 0x1
	s_load_b128 s[4:7], s[0:1], 0x18
	s_load_b64 s[16:17], s[0:1], 0x30
	v_mad_u32 v1, s18, 13, v0
	v_mul_u32_u24_e32 v2, 0x13b2, v0
	s_wait_xcnt 0x0
	s_mul_i32 s0, s14, 13
	s_sub_co_i32 s1, s18, s14
	s_delay_alu instid0(VALU_DEP_1) | instskip(NEXT) | instid1(VALU_DEP_3)
	v_lshrrev_b32_e32 v2, 16, v2
	v_subrev_nc_u32_e32 v3, s0, v1
	v_mov_b32_e32 v1, 0
	s_sub_co_i32 s0, s19, s14
	s_branch .LBB0_10
.LBB0_9:                                ;   in Loop: Header=BB0_10 Depth=1
	s_or_b32 exec_lo, exec_lo, s3
	v_add_nc_u32_e32 v3, 52, v3
	s_add_co_i32 s1, s1, 4
	s_delay_alu instid0(SALU_CYCLE_1)
	s_cmp_ge_i32 s1, s0
	s_cbranch_scc1 .LBB0_12
.LBB0_10:                               ; =>This Inner Loop Header: Depth=1
	v_add_nc_u32_e32 v4, s1, v2
	s_mov_b32 s3, exec_lo
	s_delay_alu instid0(VALU_DEP_1)
	v_cmpx_gt_i32_e64 s0, v4
	s_cbranch_execz .LBB0_9
; %bb.11:                               ;   in Loop: Header=BB0_10 Depth=1
	s_wait_kmcnt 0x0
	global_load_b32 v4, v4, s[4:5] scale_offset
	s_wait_loadcnt 0x0
	v_subrev_nc_u32_e32 v4, s14, v4
	global_load_b32 v5, v3, s[6:7] scale_offset
	global_load_b32 v6, v4, s[16:17] scale_offset
	s_wait_loadcnt 0x0
	v_fmac_f32_e32 v1, v5, v6
	s_branch .LBB0_9
.LBB0_12:
	v_lshlrev_b32_e32 v2, 2, v0
	s_wait_xcnt 0x0
	s_mov_b32 s0, exec_lo
	ds_store_b32 v2, v1
	s_wait_dscnt 0x0
	s_barrier_signal -1
	s_barrier_wait -1
	v_cmpx_gt_u32_e32 26, v0
	s_cbranch_execz .LBB0_14
; %bb.13:
	ds_load_2addr_b32 v[4:5], v2 offset1:26
	s_wait_dscnt 0x0
	v_add_f32_e32 v1, v5, v4
	ds_store_b32 v2, v1
.LBB0_14:
	s_or_b32 exec_lo, exec_lo, s0
	v_cmp_gt_u32_e32 vcc_lo, 13, v0
	s_wait_dscnt 0x0
	s_barrier_signal -1
	s_barrier_wait -1
	s_and_saveexec_b32 s0, vcc_lo
	s_cbranch_execz .LBB0_16
; %bb.15:
	ds_load_2addr_b32 v[4:5], v2 offset1:13
	s_wait_dscnt 0x0
	v_add_f32_e32 v1, v5, v4
	ds_store_b32 v2, v1
.LBB0_16:
	s_or_b32 exec_lo, exec_lo, s0
	s_wait_dscnt 0x0
	s_barrier_signal -1
	s_barrier_wait -1
	s_and_saveexec_b32 s0, vcc_lo
	s_cbranch_execz .LBB0_20
; %bb.17:
	ds_load_b32 v1, v2
	v_mad_u32 v0, s12, 13, v0
	s_cmp_eq_f32 s2, 0
	s_mov_b32 s0, 0
	s_wait_dscnt 0x0
	v_mul_f32_e32 v1, s8, v1
	s_cbranch_scc0 .LBB0_21
; %bb.18:
	s_wait_kmcnt 0x0
	global_store_b32 v0, v1, s[10:11] scale_offset
	s_and_not1_b32 vcc_lo, exec_lo, s0
	s_cbranch_vccnz .LBB0_20
.LBB0_19:
	s_wait_kmcnt 0x0
	global_load_b32 v2, v0, s[10:11] scale_offset
	s_wait_loadcnt 0x0
	s_wait_xcnt 0x1
	v_fmac_f32_e32 v1, s2, v2
	global_store_b32 v0, v1, s[10:11] scale_offset
.LBB0_20:
	s_endpgm
.LBB0_21:
	s_branch .LBB0_19
	.section	.rodata,"a",@progbits
	.p2align	6, 0x0
	.amdhsa_kernel _ZN9rocsparseL22gebsrmvn_mxn_16_kernelILj52ELj13ELj1EfEEvi20rocsparse_direction_NS_24const_host_device_scalarIT2_EEPKiS6_PKS3_iiS8_S4_PS3_21rocsparse_index_base_b
		.amdhsa_group_segment_fixed_size 208
		.amdhsa_private_segment_fixed_size 0
		.amdhsa_kernarg_size 80
		.amdhsa_user_sgpr_count 2
		.amdhsa_user_sgpr_dispatch_ptr 0
		.amdhsa_user_sgpr_queue_ptr 0
		.amdhsa_user_sgpr_kernarg_segment_ptr 1
		.amdhsa_user_sgpr_dispatch_id 0
		.amdhsa_user_sgpr_kernarg_preload_length 0
		.amdhsa_user_sgpr_kernarg_preload_offset 0
		.amdhsa_user_sgpr_private_segment_size 0
		.amdhsa_wavefront_size32 1
		.amdhsa_uses_dynamic_stack 0
		.amdhsa_enable_private_segment 0
		.amdhsa_system_sgpr_workgroup_id_x 1
		.amdhsa_system_sgpr_workgroup_id_y 0
		.amdhsa_system_sgpr_workgroup_id_z 0
		.amdhsa_system_sgpr_workgroup_info 0
		.amdhsa_system_vgpr_workitem_id 0
		.amdhsa_next_free_vgpr 7
		.amdhsa_next_free_sgpr 20
		.amdhsa_named_barrier_count 0
		.amdhsa_reserve_vcc 1
		.amdhsa_float_round_mode_32 0
		.amdhsa_float_round_mode_16_64 0
		.amdhsa_float_denorm_mode_32 3
		.amdhsa_float_denorm_mode_16_64 3
		.amdhsa_fp16_overflow 0
		.amdhsa_memory_ordered 1
		.amdhsa_forward_progress 1
		.amdhsa_inst_pref_size 6
		.amdhsa_round_robin_scheduling 0
		.amdhsa_exception_fp_ieee_invalid_op 0
		.amdhsa_exception_fp_denorm_src 0
		.amdhsa_exception_fp_ieee_div_zero 0
		.amdhsa_exception_fp_ieee_overflow 0
		.amdhsa_exception_fp_ieee_underflow 0
		.amdhsa_exception_fp_ieee_inexact 0
		.amdhsa_exception_int_div_zero 0
	.end_amdhsa_kernel
	.section	.text._ZN9rocsparseL22gebsrmvn_mxn_16_kernelILj52ELj13ELj1EfEEvi20rocsparse_direction_NS_24const_host_device_scalarIT2_EEPKiS6_PKS3_iiS8_S4_PS3_21rocsparse_index_base_b,"axG",@progbits,_ZN9rocsparseL22gebsrmvn_mxn_16_kernelILj52ELj13ELj1EfEEvi20rocsparse_direction_NS_24const_host_device_scalarIT2_EEPKiS6_PKS3_iiS8_S4_PS3_21rocsparse_index_base_b,comdat
.Lfunc_end0:
	.size	_ZN9rocsparseL22gebsrmvn_mxn_16_kernelILj52ELj13ELj1EfEEvi20rocsparse_direction_NS_24const_host_device_scalarIT2_EEPKiS6_PKS3_iiS8_S4_PS3_21rocsparse_index_base_b, .Lfunc_end0-_ZN9rocsparseL22gebsrmvn_mxn_16_kernelILj52ELj13ELj1EfEEvi20rocsparse_direction_NS_24const_host_device_scalarIT2_EEPKiS6_PKS3_iiS8_S4_PS3_21rocsparse_index_base_b
                                        ; -- End function
	.set _ZN9rocsparseL22gebsrmvn_mxn_16_kernelILj52ELj13ELj1EfEEvi20rocsparse_direction_NS_24const_host_device_scalarIT2_EEPKiS6_PKS3_iiS8_S4_PS3_21rocsparse_index_base_b.num_vgpr, 7
	.set _ZN9rocsparseL22gebsrmvn_mxn_16_kernelILj52ELj13ELj1EfEEvi20rocsparse_direction_NS_24const_host_device_scalarIT2_EEPKiS6_PKS3_iiS8_S4_PS3_21rocsparse_index_base_b.num_agpr, 0
	.set _ZN9rocsparseL22gebsrmvn_mxn_16_kernelILj52ELj13ELj1EfEEvi20rocsparse_direction_NS_24const_host_device_scalarIT2_EEPKiS6_PKS3_iiS8_S4_PS3_21rocsparse_index_base_b.numbered_sgpr, 20
	.set _ZN9rocsparseL22gebsrmvn_mxn_16_kernelILj52ELj13ELj1EfEEvi20rocsparse_direction_NS_24const_host_device_scalarIT2_EEPKiS6_PKS3_iiS8_S4_PS3_21rocsparse_index_base_b.num_named_barrier, 0
	.set _ZN9rocsparseL22gebsrmvn_mxn_16_kernelILj52ELj13ELj1EfEEvi20rocsparse_direction_NS_24const_host_device_scalarIT2_EEPKiS6_PKS3_iiS8_S4_PS3_21rocsparse_index_base_b.private_seg_size, 0
	.set _ZN9rocsparseL22gebsrmvn_mxn_16_kernelILj52ELj13ELj1EfEEvi20rocsparse_direction_NS_24const_host_device_scalarIT2_EEPKiS6_PKS3_iiS8_S4_PS3_21rocsparse_index_base_b.uses_vcc, 1
	.set _ZN9rocsparseL22gebsrmvn_mxn_16_kernelILj52ELj13ELj1EfEEvi20rocsparse_direction_NS_24const_host_device_scalarIT2_EEPKiS6_PKS3_iiS8_S4_PS3_21rocsparse_index_base_b.uses_flat_scratch, 0
	.set _ZN9rocsparseL22gebsrmvn_mxn_16_kernelILj52ELj13ELj1EfEEvi20rocsparse_direction_NS_24const_host_device_scalarIT2_EEPKiS6_PKS3_iiS8_S4_PS3_21rocsparse_index_base_b.has_dyn_sized_stack, 0
	.set _ZN9rocsparseL22gebsrmvn_mxn_16_kernelILj52ELj13ELj1EfEEvi20rocsparse_direction_NS_24const_host_device_scalarIT2_EEPKiS6_PKS3_iiS8_S4_PS3_21rocsparse_index_base_b.has_recursion, 0
	.set _ZN9rocsparseL22gebsrmvn_mxn_16_kernelILj52ELj13ELj1EfEEvi20rocsparse_direction_NS_24const_host_device_scalarIT2_EEPKiS6_PKS3_iiS8_S4_PS3_21rocsparse_index_base_b.has_indirect_call, 0
	.section	.AMDGPU.csdata,"",@progbits
; Kernel info:
; codeLenInByte = 664
; TotalNumSgprs: 22
; NumVgprs: 7
; ScratchSize: 0
; MemoryBound: 0
; FloatMode: 240
; IeeeMode: 1
; LDSByteSize: 208 bytes/workgroup (compile time only)
; SGPRBlocks: 0
; VGPRBlocks: 0
; NumSGPRsForWavesPerEU: 22
; NumVGPRsForWavesPerEU: 7
; NamedBarCnt: 0
; Occupancy: 16
; WaveLimiterHint : 1
; COMPUTE_PGM_RSRC2:SCRATCH_EN: 0
; COMPUTE_PGM_RSRC2:USER_SGPR: 2
; COMPUTE_PGM_RSRC2:TRAP_HANDLER: 0
; COMPUTE_PGM_RSRC2:TGID_X_EN: 1
; COMPUTE_PGM_RSRC2:TGID_Y_EN: 0
; COMPUTE_PGM_RSRC2:TGID_Z_EN: 0
; COMPUTE_PGM_RSRC2:TIDIG_COMP_CNT: 0
	.section	.text._ZN9rocsparseL22gebsrmvn_mxn_16_kernelILj52ELj13ELj2EfEEvi20rocsparse_direction_NS_24const_host_device_scalarIT2_EEPKiS6_PKS3_iiS8_S4_PS3_21rocsparse_index_base_b,"axG",@progbits,_ZN9rocsparseL22gebsrmvn_mxn_16_kernelILj52ELj13ELj2EfEEvi20rocsparse_direction_NS_24const_host_device_scalarIT2_EEPKiS6_PKS3_iiS8_S4_PS3_21rocsparse_index_base_b,comdat
	.globl	_ZN9rocsparseL22gebsrmvn_mxn_16_kernelILj52ELj13ELj2EfEEvi20rocsparse_direction_NS_24const_host_device_scalarIT2_EEPKiS6_PKS3_iiS8_S4_PS3_21rocsparse_index_base_b ; -- Begin function _ZN9rocsparseL22gebsrmvn_mxn_16_kernelILj52ELj13ELj2EfEEvi20rocsparse_direction_NS_24const_host_device_scalarIT2_EEPKiS6_PKS3_iiS8_S4_PS3_21rocsparse_index_base_b
	.p2align	8
	.type	_ZN9rocsparseL22gebsrmvn_mxn_16_kernelILj52ELj13ELj2EfEEvi20rocsparse_direction_NS_24const_host_device_scalarIT2_EEPKiS6_PKS3_iiS8_S4_PS3_21rocsparse_index_base_b,@function
_ZN9rocsparseL22gebsrmvn_mxn_16_kernelILj52ELj13ELj2EfEEvi20rocsparse_direction_NS_24const_host_device_scalarIT2_EEPKiS6_PKS3_iiS8_S4_PS3_21rocsparse_index_base_b: ; @_ZN9rocsparseL22gebsrmvn_mxn_16_kernelILj52ELj13ELj2EfEEvi20rocsparse_direction_NS_24const_host_device_scalarIT2_EEPKiS6_PKS3_iiS8_S4_PS3_21rocsparse_index_base_b
; %bb.0:
	s_clause 0x2
	s_load_b64 s[14:15], s[0:1], 0x48
	s_load_b64 s[8:9], s[0:1], 0x8
	;; [unrolled: 1-line block ×3, first 2 shown]
	s_wait_kmcnt 0x0
	s_bitcmp1_b32 s15, 0
	s_cselect_b32 s4, -1, 0
	s_delay_alu instid0(SALU_CYCLE_1)
	s_and_b32 vcc_lo, exec_lo, s4
	s_xor_b32 s4, s4, -1
	s_cbranch_vccnz .LBB1_2
; %bb.1:
	s_load_b32 s8, s[8:9], 0x0
.LBB1_2:
	s_and_not1_b32 vcc_lo, exec_lo, s4
	s_cbranch_vccnz .LBB1_4
; %bb.3:
	s_load_b32 s2, s[2:3], 0x0
.LBB1_4:
	s_wait_kmcnt 0x0
	s_cmp_eq_f32 s8, 0
	s_cselect_b32 s3, -1, 0
	s_cmp_eq_f32 s2, 1.0
	s_cselect_b32 s4, -1, 0
	s_delay_alu instid0(SALU_CYCLE_1) | instskip(NEXT) | instid1(SALU_CYCLE_1)
	s_and_b32 s3, s3, s4
	s_and_b32 vcc_lo, exec_lo, s3
	s_cbranch_vccnz .LBB1_30
; %bb.5:
	s_clause 0x1
	s_load_b32 s3, s[0:1], 0x4
	s_load_b64 s[4:5], s[0:1], 0x10
	v_and_b32_e32 v2, 1, v0
	s_delay_alu instid0(VALU_DEP_1) | instskip(SKIP_3) | instid1(SALU_CYCLE_1)
	v_mov_b32_e32 v3, v2
	s_wait_kmcnt 0x0
	s_cmp_lg_u32 s3, 1
	s_cselect_b32 s3, -1, 0
	s_and_b32 vcc_lo, exec_lo, s3
	s_cbranch_vccnz .LBB1_7
; %bb.6:
	v_mul_u32_u24_e32 v1, 0x13b2, v0
	s_delay_alu instid0(VALU_DEP_1)
	v_bfe_u32 v3, v1, 16, 1
.LBB1_7:
	s_bfe_u32 s6, ttmp6, 0x4000c
	s_and_b32 s7, ttmp6, 15
	s_add_co_i32 s6, s6, 1
	s_getreg_b32 s9, hwreg(HW_REG_IB_STS2, 6, 4)
	s_mul_i32 s6, ttmp9, s6
	v_mov_b32_e32 v1, 0
	s_add_co_i32 s7, s7, s6
	s_cmp_eq_u32 s9, 0
	s_cselect_b32 s12, ttmp9, s7
	s_delay_alu instid0(SALU_CYCLE_1) | instskip(NEXT) | instid1(SALU_CYCLE_1)
	s_ashr_i32 s13, s12, 31
	s_lshl_b64 s[6:7], s[12:13], 2
	s_delay_alu instid0(SALU_CYCLE_1)
	s_add_nc_u64 s[4:5], s[4:5], s[6:7]
	s_load_b64 s[18:19], s[4:5], 0x0
	s_load_b64 s[10:11], s[0:1], 0x40
	s_wait_kmcnt 0x0
	s_cmp_ge_i32 s18, s19
	s_cbranch_scc1 .LBB1_12
; %bb.8:
	s_clause 0x1
	s_load_b128 s[4:7], s[0:1], 0x18
	s_load_b64 s[16:17], s[0:1], 0x30
	v_mad_u32 v1, s18, 26, v0
	v_mul_u32_u24_e32 v4, 0x9d9, v0
	s_wait_xcnt 0x0
	s_mul_i32 s0, s14, 26
	s_sub_co_i32 s1, s18, s14
	s_delay_alu instid0(VALU_DEP_1) | instskip(NEXT) | instid1(VALU_DEP_3)
	v_lshrrev_b32_e32 v4, 16, v4
	v_subrev_nc_u32_e32 v5, s0, v1
	v_mov_b32_e32 v1, 0
	s_sub_co_i32 s0, s19, s14
	s_branch .LBB1_10
.LBB1_9:                                ;   in Loop: Header=BB1_10 Depth=1
	s_or_b32 exec_lo, exec_lo, s9
	v_add_nc_u32_e32 v5, 52, v5
	s_add_co_i32 s1, s1, 2
	s_delay_alu instid0(SALU_CYCLE_1)
	s_cmp_ge_i32 s1, s0
	s_cbranch_scc1 .LBB1_12
.LBB1_10:                               ; =>This Inner Loop Header: Depth=1
	v_add_nc_u32_e32 v6, s1, v4
	s_mov_b32 s9, exec_lo
	s_delay_alu instid0(VALU_DEP_1)
	v_cmpx_gt_i32_e64 s0, v6
	s_cbranch_execz .LBB1_9
; %bb.11:                               ;   in Loop: Header=BB1_10 Depth=1
	s_wait_kmcnt 0x0
	global_load_b32 v6, v6, s[4:5] scale_offset
	s_wait_loadcnt 0x0
	v_subrev_nc_u32_e32 v6, s14, v6
	s_delay_alu instid0(VALU_DEP_1)
	v_lshl_or_b32 v6, v6, 1, v3
	global_load_b32 v7, v5, s[6:7] scale_offset
	global_load_b32 v8, v6, s[16:17] scale_offset
	s_wait_loadcnt 0x0
	v_fmac_f32_e32 v1, v7, v8
	s_branch .LBB1_9
.LBB1_12:
	v_lshlrev_b32_e32 v3, 2, v0
	s_mov_b32 s0, exec_lo
	ds_store_b32 v3, v1
	s_wait_dscnt 0x0
	s_barrier_signal -1
	s_barrier_wait -1
	v_cmpx_gt_u32_e32 26, v0
	s_cbranch_execz .LBB1_14
; %bb.13:
	ds_load_2addr_b32 v[4:5], v3 offset1:26
	s_wait_dscnt 0x0
	v_add_f32_e32 v4, v5, v4
	ds_store_b32 v3, v4
.LBB1_14:
	s_or_b32 exec_lo, exec_lo, s0
	s_delay_alu instid0(SALU_CYCLE_1)
	s_and_b32 vcc_lo, exec_lo, s3
	s_wait_dscnt 0x0
	s_barrier_signal -1
	s_barrier_wait -1
	s_cbranch_vccz .LBB1_20
; %bb.15:
	s_mov_b32 s0, exec_lo
	v_cmpx_eq_u32_e32 0, v2
	s_cbranch_execz .LBB1_17
; %bb.16:
	ds_load_2addr_b32 v[4:5], v3 offset1:1
	s_wait_dscnt 0x0
	v_add_f32_e32 v2, v5, v4
	ds_store_b32 v3, v2
.LBB1_17:
	s_or_b32 exec_lo, exec_lo, s0
	v_mov_b32_e32 v2, v1
	s_mov_b32 s0, exec_lo
	s_wait_dscnt 0x0
	s_barrier_signal -1
	s_barrier_wait -1
	v_cmpx_gt_u32_e32 13, v0
; %bb.18:
	v_lshl_add_u32 v2, v0, 2, v3
	ds_load_b32 v2, v2
; %bb.19:
	s_or_b32 exec_lo, exec_lo, s0
	s_branch .LBB1_26
.LBB1_20:
                                        ; implicit-def: $vgpr2
	s_cbranch_execz .LBB1_26
; %bb.21:
	s_mov_b32 s0, exec_lo
	v_cmpx_lt_u32_e32 12, v0
	s_xor_b32 s0, exec_lo, s0
	s_cbranch_execz .LBB1_23
; %bb.22:
	s_wait_dscnt 0x0
                                        ; implicit-def: $vgpr3
.LBB1_23:
	s_and_not1_saveexec_b32 s0, s0
	s_cbranch_execz .LBB1_25
; %bb.24:
	ds_load_2addr_b32 v[4:5], v3 offset1:13
	s_wait_dscnt 0x0
	v_add_f32_e32 v1, v5, v4
	ds_store_b32 v3, v1
	s_wait_dscnt 0x0
	ds_load_b32 v1, v3
.LBB1_25:
	s_or_b32 exec_lo, exec_lo, s0
	s_wait_dscnt 0x0
	v_mov_b32_e32 v2, v1
.LBB1_26:
	s_mov_b32 s0, exec_lo
	v_cmpx_gt_u32_e32 13, v0
	s_cbranch_execz .LBB1_30
; %bb.27:
	v_mad_u32 v0, s12, 13, v0
	s_wait_dscnt 0x0
	v_mul_f32_e32 v1, s8, v2
	s_cmp_eq_f32 s2, 0
	s_mov_b32 s0, 0
	s_cbranch_scc0 .LBB1_31
; %bb.28:
	global_store_b32 v0, v1, s[10:11] scale_offset
	s_and_not1_b32 vcc_lo, exec_lo, s0
	s_cbranch_vccnz .LBB1_30
.LBB1_29:
	global_load_b32 v2, v0, s[10:11] scale_offset
	s_wait_loadcnt 0x0
	s_wait_xcnt 0x1
	v_fmac_f32_e32 v1, s2, v2
	global_store_b32 v0, v1, s[10:11] scale_offset
.LBB1_30:
	s_endpgm
.LBB1_31:
	s_branch .LBB1_29
	.section	.rodata,"a",@progbits
	.p2align	6, 0x0
	.amdhsa_kernel _ZN9rocsparseL22gebsrmvn_mxn_16_kernelILj52ELj13ELj2EfEEvi20rocsparse_direction_NS_24const_host_device_scalarIT2_EEPKiS6_PKS3_iiS8_S4_PS3_21rocsparse_index_base_b
		.amdhsa_group_segment_fixed_size 208
		.amdhsa_private_segment_fixed_size 0
		.amdhsa_kernarg_size 80
		.amdhsa_user_sgpr_count 2
		.amdhsa_user_sgpr_dispatch_ptr 0
		.amdhsa_user_sgpr_queue_ptr 0
		.amdhsa_user_sgpr_kernarg_segment_ptr 1
		.amdhsa_user_sgpr_dispatch_id 0
		.amdhsa_user_sgpr_kernarg_preload_length 0
		.amdhsa_user_sgpr_kernarg_preload_offset 0
		.amdhsa_user_sgpr_private_segment_size 0
		.amdhsa_wavefront_size32 1
		.amdhsa_uses_dynamic_stack 0
		.amdhsa_enable_private_segment 0
		.amdhsa_system_sgpr_workgroup_id_x 1
		.amdhsa_system_sgpr_workgroup_id_y 0
		.amdhsa_system_sgpr_workgroup_id_z 0
		.amdhsa_system_sgpr_workgroup_info 0
		.amdhsa_system_vgpr_workitem_id 0
		.amdhsa_next_free_vgpr 9
		.amdhsa_next_free_sgpr 20
		.amdhsa_named_barrier_count 0
		.amdhsa_reserve_vcc 1
		.amdhsa_float_round_mode_32 0
		.amdhsa_float_round_mode_16_64 0
		.amdhsa_float_denorm_mode_32 3
		.amdhsa_float_denorm_mode_16_64 3
		.amdhsa_fp16_overflow 0
		.amdhsa_memory_ordered 1
		.amdhsa_forward_progress 1
		.amdhsa_inst_pref_size 7
		.amdhsa_round_robin_scheduling 0
		.amdhsa_exception_fp_ieee_invalid_op 0
		.amdhsa_exception_fp_denorm_src 0
		.amdhsa_exception_fp_ieee_div_zero 0
		.amdhsa_exception_fp_ieee_overflow 0
		.amdhsa_exception_fp_ieee_underflow 0
		.amdhsa_exception_fp_ieee_inexact 0
		.amdhsa_exception_int_div_zero 0
	.end_amdhsa_kernel
	.section	.text._ZN9rocsparseL22gebsrmvn_mxn_16_kernelILj52ELj13ELj2EfEEvi20rocsparse_direction_NS_24const_host_device_scalarIT2_EEPKiS6_PKS3_iiS8_S4_PS3_21rocsparse_index_base_b,"axG",@progbits,_ZN9rocsparseL22gebsrmvn_mxn_16_kernelILj52ELj13ELj2EfEEvi20rocsparse_direction_NS_24const_host_device_scalarIT2_EEPKiS6_PKS3_iiS8_S4_PS3_21rocsparse_index_base_b,comdat
.Lfunc_end1:
	.size	_ZN9rocsparseL22gebsrmvn_mxn_16_kernelILj52ELj13ELj2EfEEvi20rocsparse_direction_NS_24const_host_device_scalarIT2_EEPKiS6_PKS3_iiS8_S4_PS3_21rocsparse_index_base_b, .Lfunc_end1-_ZN9rocsparseL22gebsrmvn_mxn_16_kernelILj52ELj13ELj2EfEEvi20rocsparse_direction_NS_24const_host_device_scalarIT2_EEPKiS6_PKS3_iiS8_S4_PS3_21rocsparse_index_base_b
                                        ; -- End function
	.set _ZN9rocsparseL22gebsrmvn_mxn_16_kernelILj52ELj13ELj2EfEEvi20rocsparse_direction_NS_24const_host_device_scalarIT2_EEPKiS6_PKS3_iiS8_S4_PS3_21rocsparse_index_base_b.num_vgpr, 9
	.set _ZN9rocsparseL22gebsrmvn_mxn_16_kernelILj52ELj13ELj2EfEEvi20rocsparse_direction_NS_24const_host_device_scalarIT2_EEPKiS6_PKS3_iiS8_S4_PS3_21rocsparse_index_base_b.num_agpr, 0
	.set _ZN9rocsparseL22gebsrmvn_mxn_16_kernelILj52ELj13ELj2EfEEvi20rocsparse_direction_NS_24const_host_device_scalarIT2_EEPKiS6_PKS3_iiS8_S4_PS3_21rocsparse_index_base_b.numbered_sgpr, 20
	.set _ZN9rocsparseL22gebsrmvn_mxn_16_kernelILj52ELj13ELj2EfEEvi20rocsparse_direction_NS_24const_host_device_scalarIT2_EEPKiS6_PKS3_iiS8_S4_PS3_21rocsparse_index_base_b.num_named_barrier, 0
	.set _ZN9rocsparseL22gebsrmvn_mxn_16_kernelILj52ELj13ELj2EfEEvi20rocsparse_direction_NS_24const_host_device_scalarIT2_EEPKiS6_PKS3_iiS8_S4_PS3_21rocsparse_index_base_b.private_seg_size, 0
	.set _ZN9rocsparseL22gebsrmvn_mxn_16_kernelILj52ELj13ELj2EfEEvi20rocsparse_direction_NS_24const_host_device_scalarIT2_EEPKiS6_PKS3_iiS8_S4_PS3_21rocsparse_index_base_b.uses_vcc, 1
	.set _ZN9rocsparseL22gebsrmvn_mxn_16_kernelILj52ELj13ELj2EfEEvi20rocsparse_direction_NS_24const_host_device_scalarIT2_EEPKiS6_PKS3_iiS8_S4_PS3_21rocsparse_index_base_b.uses_flat_scratch, 0
	.set _ZN9rocsparseL22gebsrmvn_mxn_16_kernelILj52ELj13ELj2EfEEvi20rocsparse_direction_NS_24const_host_device_scalarIT2_EEPKiS6_PKS3_iiS8_S4_PS3_21rocsparse_index_base_b.has_dyn_sized_stack, 0
	.set _ZN9rocsparseL22gebsrmvn_mxn_16_kernelILj52ELj13ELj2EfEEvi20rocsparse_direction_NS_24const_host_device_scalarIT2_EEPKiS6_PKS3_iiS8_S4_PS3_21rocsparse_index_base_b.has_recursion, 0
	.set _ZN9rocsparseL22gebsrmvn_mxn_16_kernelILj52ELj13ELj2EfEEvi20rocsparse_direction_NS_24const_host_device_scalarIT2_EEPKiS6_PKS3_iiS8_S4_PS3_21rocsparse_index_base_b.has_indirect_call, 0
	.section	.AMDGPU.csdata,"",@progbits
; Kernel info:
; codeLenInByte = 828
; TotalNumSgprs: 22
; NumVgprs: 9
; ScratchSize: 0
; MemoryBound: 0
; FloatMode: 240
; IeeeMode: 1
; LDSByteSize: 208 bytes/workgroup (compile time only)
; SGPRBlocks: 0
; VGPRBlocks: 0
; NumSGPRsForWavesPerEU: 22
; NumVGPRsForWavesPerEU: 9
; NamedBarCnt: 0
; Occupancy: 16
; WaveLimiterHint : 1
; COMPUTE_PGM_RSRC2:SCRATCH_EN: 0
; COMPUTE_PGM_RSRC2:USER_SGPR: 2
; COMPUTE_PGM_RSRC2:TRAP_HANDLER: 0
; COMPUTE_PGM_RSRC2:TGID_X_EN: 1
; COMPUTE_PGM_RSRC2:TGID_Y_EN: 0
; COMPUTE_PGM_RSRC2:TGID_Z_EN: 0
; COMPUTE_PGM_RSRC2:TIDIG_COMP_CNT: 0
	.section	.text._ZN9rocsparseL22gebsrmvn_mxn_16_kernelILj39ELj13ELj3EfEEvi20rocsparse_direction_NS_24const_host_device_scalarIT2_EEPKiS6_PKS3_iiS8_S4_PS3_21rocsparse_index_base_b,"axG",@progbits,_ZN9rocsparseL22gebsrmvn_mxn_16_kernelILj39ELj13ELj3EfEEvi20rocsparse_direction_NS_24const_host_device_scalarIT2_EEPKiS6_PKS3_iiS8_S4_PS3_21rocsparse_index_base_b,comdat
	.globl	_ZN9rocsparseL22gebsrmvn_mxn_16_kernelILj39ELj13ELj3EfEEvi20rocsparse_direction_NS_24const_host_device_scalarIT2_EEPKiS6_PKS3_iiS8_S4_PS3_21rocsparse_index_base_b ; -- Begin function _ZN9rocsparseL22gebsrmvn_mxn_16_kernelILj39ELj13ELj3EfEEvi20rocsparse_direction_NS_24const_host_device_scalarIT2_EEPKiS6_PKS3_iiS8_S4_PS3_21rocsparse_index_base_b
	.p2align	8
	.type	_ZN9rocsparseL22gebsrmvn_mxn_16_kernelILj39ELj13ELj3EfEEvi20rocsparse_direction_NS_24const_host_device_scalarIT2_EEPKiS6_PKS3_iiS8_S4_PS3_21rocsparse_index_base_b,@function
_ZN9rocsparseL22gebsrmvn_mxn_16_kernelILj39ELj13ELj3EfEEvi20rocsparse_direction_NS_24const_host_device_scalarIT2_EEPKiS6_PKS3_iiS8_S4_PS3_21rocsparse_index_base_b: ; @_ZN9rocsparseL22gebsrmvn_mxn_16_kernelILj39ELj13ELj3EfEEvi20rocsparse_direction_NS_24const_host_device_scalarIT2_EEPKiS6_PKS3_iiS8_S4_PS3_21rocsparse_index_base_b
; %bb.0:
	s_clause 0x2
	s_load_b64 s[14:15], s[0:1], 0x48
	s_load_b64 s[8:9], s[0:1], 0x8
	;; [unrolled: 1-line block ×3, first 2 shown]
	s_wait_kmcnt 0x0
	s_bitcmp1_b32 s15, 0
	s_cselect_b32 s4, -1, 0
	s_delay_alu instid0(SALU_CYCLE_1)
	s_and_b32 vcc_lo, exec_lo, s4
	s_xor_b32 s4, s4, -1
	s_cbranch_vccnz .LBB2_2
; %bb.1:
	s_load_b32 s8, s[8:9], 0x0
.LBB2_2:
	s_and_not1_b32 vcc_lo, exec_lo, s4
	s_cbranch_vccnz .LBB2_4
; %bb.3:
	s_load_b32 s2, s[2:3], 0x0
.LBB2_4:
	s_wait_kmcnt 0x0
	s_cmp_eq_f32 s8, 0
	s_cselect_b32 s3, -1, 0
	s_cmp_eq_f32 s2, 1.0
	s_cselect_b32 s4, -1, 0
	s_delay_alu instid0(SALU_CYCLE_1) | instskip(NEXT) | instid1(SALU_CYCLE_1)
	s_and_b32 s3, s3, s4
	s_and_b32 vcc_lo, exec_lo, s3
	s_cbranch_vccnz .LBB2_32
; %bb.5:
	v_mul_u32_u24_e32 v1, 0x5556, v0
	s_clause 0x1
	s_load_b32 s3, s[0:1], 0x4
	s_load_b64 s[4:5], s[0:1], 0x10
	v_and_b32_e32 v4, 0xffff, v0
	v_lshrrev_b32_e32 v1, 16, v1
	s_delay_alu instid0(VALU_DEP_1) | instskip(NEXT) | instid1(VALU_DEP_1)
	v_mul_lo_u16 v1, v1, 3
	v_sub_nc_u16 v1, v0, v1
	s_delay_alu instid0(VALU_DEP_1) | instskip(SKIP_3) | instid1(SALU_CYCLE_1)
	v_and_b32_e32 v3, 0xffff, v1
	s_wait_kmcnt 0x0
	s_cmp_lg_u32 s3, 1
	s_cselect_b32 s3, -1, 0
	s_and_b32 vcc_lo, exec_lo, s3
	v_mov_b32_e32 v2, v3
	s_cbranch_vccnz .LBB2_7
; %bb.6:
	v_mul_u32_u24_e32 v1, 0x13b2, v4
	s_delay_alu instid0(VALU_DEP_1) | instskip(NEXT) | instid1(VALU_DEP_1)
	v_lshrrev_b32_e32 v1, 16, v1
	v_mul_lo_u16 v2, 0x56, v1
	s_delay_alu instid0(VALU_DEP_1) | instskip(NEXT) | instid1(VALU_DEP_1)
	v_lshrrev_b16 v2, 8, v2
	v_mul_lo_u16 v2, v2, 3
	s_delay_alu instid0(VALU_DEP_1) | instskip(NEXT) | instid1(VALU_DEP_1)
	v_sub_nc_u16 v1, v1, v2
	v_and_b32_e32 v2, 0xff, v1
.LBB2_7:
	s_bfe_u32 s6, ttmp6, 0x4000c
	s_and_b32 s7, ttmp6, 15
	s_add_co_i32 s6, s6, 1
	s_getreg_b32 s9, hwreg(HW_REG_IB_STS2, 6, 4)
	s_mul_i32 s6, ttmp9, s6
	v_mov_b32_e32 v1, 0
	s_add_co_i32 s7, s7, s6
	s_cmp_eq_u32 s9, 0
	s_cselect_b32 s12, ttmp9, s7
	s_delay_alu instid0(SALU_CYCLE_1) | instskip(NEXT) | instid1(SALU_CYCLE_1)
	s_ashr_i32 s13, s12, 31
	s_lshl_b64 s[6:7], s[12:13], 2
	s_delay_alu instid0(SALU_CYCLE_1)
	s_add_nc_u64 s[4:5], s[4:5], s[6:7]
	s_load_b64 s[18:19], s[4:5], 0x0
	s_load_b64 s[10:11], s[0:1], 0x40
	s_wait_kmcnt 0x0
	s_cmp_ge_i32 s18, s19
	s_cbranch_scc1 .LBB2_12
; %bb.8:
	s_clause 0x1
	s_load_b128 s[4:7], s[0:1], 0x18
	s_load_b64 s[16:17], s[0:1], 0x30
	v_mad_u32 v1, s18, 39, v0
	v_mul_u32_u24_e32 v4, 0x691, v4
	s_wait_xcnt 0x0
	s_mul_i32 s0, s14, 39
	s_sub_co_i32 s1, s18, s14
	s_delay_alu instid0(VALU_DEP_1) | instskip(NEXT) | instid1(VALU_DEP_3)
	v_lshrrev_b32_e32 v4, 16, v4
	v_subrev_nc_u32_e32 v5, s0, v1
	v_mov_b32_e32 v1, 0
	s_sub_co_i32 s0, s19, s14
	s_branch .LBB2_10
.LBB2_9:                                ;   in Loop: Header=BB2_10 Depth=1
	s_or_b32 exec_lo, exec_lo, s9
	v_add_nc_u32_e32 v5, 39, v5
	s_add_co_i32 s1, s1, 1
	s_delay_alu instid0(SALU_CYCLE_1)
	s_cmp_ge_i32 s1, s0
	s_cbranch_scc1 .LBB2_12
.LBB2_10:                               ; =>This Inner Loop Header: Depth=1
	v_add_nc_u32_e32 v6, s1, v4
	s_mov_b32 s9, exec_lo
	s_delay_alu instid0(VALU_DEP_1)
	v_cmpx_gt_i32_e64 s0, v6
	s_cbranch_execz .LBB2_9
; %bb.11:                               ;   in Loop: Header=BB2_10 Depth=1
	s_wait_kmcnt 0x0
	global_load_b32 v6, v6, s[4:5] scale_offset
	s_wait_loadcnt 0x0
	v_subrev_nc_u32_e32 v6, s14, v6
	s_delay_alu instid0(VALU_DEP_1)
	v_mad_u32 v6, v6, 3, v2
	global_load_b32 v7, v5, s[6:7] scale_offset
	global_load_b32 v8, v6, s[16:17] scale_offset
	s_wait_loadcnt 0x0
	v_fmac_f32_e32 v1, v7, v8
	s_branch .LBB2_9
.LBB2_12:
	v_lshlrev_b32_e32 v2, 2, v0
	s_and_b32 vcc_lo, exec_lo, s3
	ds_store_b32 v2, v1
	s_wait_dscnt 0x0
	s_barrier_signal -1
	s_barrier_wait -1
	s_cbranch_vccz .LBB2_20
; %bb.13:
	v_cmp_eq_u16_e32 vcc_lo, 0, v3
	s_and_saveexec_b32 s0, vcc_lo
	s_cbranch_execz .LBB2_15
; %bb.14:
	ds_load_2addr_b32 v[4:5], v2 offset1:2
	s_wait_dscnt 0x0
	v_add_f32_e32 v3, v5, v4
	ds_store_b32 v2, v3
.LBB2_15:
	s_or_b32 exec_lo, exec_lo, s0
	s_wait_dscnt 0x0
	s_barrier_signal -1
	s_barrier_wait -1
	s_and_saveexec_b32 s0, vcc_lo
	s_cbranch_execz .LBB2_17
; %bb.16:
	ds_load_2addr_b32 v[4:5], v2 offset1:1
	s_wait_dscnt 0x0
	v_add_f32_e32 v3, v5, v4
	ds_store_b32 v2, v3
.LBB2_17:
	s_or_b32 exec_lo, exec_lo, s0
	v_mov_b32_e32 v3, v1
	s_mov_b32 s0, exec_lo
	s_wait_dscnt 0x0
	s_barrier_signal -1
	s_barrier_wait -1
	v_cmpx_gt_u32_e32 13, v0
; %bb.18:
	v_lshl_add_u32 v3, v0, 3, v2
	ds_load_b32 v3, v3
; %bb.19:
	s_or_b32 exec_lo, exec_lo, s0
	v_cmp_gt_u32_e64 s0, 13, v0
	s_branch .LBB2_28
.LBB2_20:
                                        ; implicit-def: $vgpr3
	v_cmp_gt_u32_e64 s0, 13, v0
	s_cbranch_execz .LBB2_28
; %bb.21:
	v_cmp_lt_u32_e32 vcc_lo, 12, v0
	s_and_saveexec_b32 s1, s0
	s_cbranch_execz .LBB2_23
; %bb.22:
	ds_load_2addr_b32 v[4:5], v2 offset1:26
	s_wait_dscnt 0x0
	v_add_f32_e32 v3, v5, v4
	ds_store_b32 v2, v3
.LBB2_23:
	s_or_b32 exec_lo, exec_lo, s1
	s_wait_dscnt 0x0
	s_barrier_signal -1
	s_barrier_wait -1
	s_and_saveexec_b32 s0, vcc_lo
	s_delay_alu instid0(SALU_CYCLE_1)
	s_xor_b32 s0, exec_lo, s0
; %bb.24:
                                        ; implicit-def: $vgpr2
; %bb.25:
	s_delay_alu instid0(SALU_CYCLE_1)
	s_and_not1_saveexec_b32 s0, s0
	s_cbranch_execz .LBB2_27
; %bb.26:
	ds_load_2addr_b32 v[4:5], v2 offset1:13
	s_wait_dscnt 0x0
	v_add_f32_e32 v1, v5, v4
	ds_store_b32 v2, v1
	s_wait_dscnt 0x0
	ds_load_b32 v1, v2
.LBB2_27:
	s_or_b32 exec_lo, exec_lo, s0
	s_wait_dscnt 0x0
	v_mov_b32_e32 v3, v1
.LBB2_28:
	s_mov_b32 s0, exec_lo
	v_cmpx_gt_u32_e32 13, v0
	s_cbranch_execz .LBB2_32
; %bb.29:
	v_mad_u32 v0, s12, 13, v0
	s_wait_dscnt 0x0
	v_mul_f32_e32 v1, s8, v3
	s_cmp_eq_f32 s2, 0
	s_mov_b32 s0, 0
	s_cbranch_scc0 .LBB2_33
; %bb.30:
	global_store_b32 v0, v1, s[10:11] scale_offset
	s_and_not1_b32 vcc_lo, exec_lo, s0
	s_cbranch_vccnz .LBB2_32
.LBB2_31:
	global_load_b32 v2, v0, s[10:11] scale_offset
	s_wait_loadcnt 0x0
	s_wait_xcnt 0x1
	v_fmac_f32_e32 v1, s2, v2
	global_store_b32 v0, v1, s[10:11] scale_offset
.LBB2_32:
	s_endpgm
.LBB2_33:
	s_branch .LBB2_31
	.section	.rodata,"a",@progbits
	.p2align	6, 0x0
	.amdhsa_kernel _ZN9rocsparseL22gebsrmvn_mxn_16_kernelILj39ELj13ELj3EfEEvi20rocsparse_direction_NS_24const_host_device_scalarIT2_EEPKiS6_PKS3_iiS8_S4_PS3_21rocsparse_index_base_b
		.amdhsa_group_segment_fixed_size 156
		.amdhsa_private_segment_fixed_size 0
		.amdhsa_kernarg_size 80
		.amdhsa_user_sgpr_count 2
		.amdhsa_user_sgpr_dispatch_ptr 0
		.amdhsa_user_sgpr_queue_ptr 0
		.amdhsa_user_sgpr_kernarg_segment_ptr 1
		.amdhsa_user_sgpr_dispatch_id 0
		.amdhsa_user_sgpr_kernarg_preload_length 0
		.amdhsa_user_sgpr_kernarg_preload_offset 0
		.amdhsa_user_sgpr_private_segment_size 0
		.amdhsa_wavefront_size32 1
		.amdhsa_uses_dynamic_stack 0
		.amdhsa_enable_private_segment 0
		.amdhsa_system_sgpr_workgroup_id_x 1
		.amdhsa_system_sgpr_workgroup_id_y 0
		.amdhsa_system_sgpr_workgroup_id_z 0
		.amdhsa_system_sgpr_workgroup_info 0
		.amdhsa_system_vgpr_workitem_id 0
		.amdhsa_next_free_vgpr 9
		.amdhsa_next_free_sgpr 20
		.amdhsa_named_barrier_count 0
		.amdhsa_reserve_vcc 1
		.amdhsa_float_round_mode_32 0
		.amdhsa_float_round_mode_16_64 0
		.amdhsa_float_denorm_mode_32 3
		.amdhsa_float_denorm_mode_16_64 3
		.amdhsa_fp16_overflow 0
		.amdhsa_memory_ordered 1
		.amdhsa_forward_progress 1
		.amdhsa_inst_pref_size 8
		.amdhsa_round_robin_scheduling 0
		.amdhsa_exception_fp_ieee_invalid_op 0
		.amdhsa_exception_fp_denorm_src 0
		.amdhsa_exception_fp_ieee_div_zero 0
		.amdhsa_exception_fp_ieee_overflow 0
		.amdhsa_exception_fp_ieee_underflow 0
		.amdhsa_exception_fp_ieee_inexact 0
		.amdhsa_exception_int_div_zero 0
	.end_amdhsa_kernel
	.section	.text._ZN9rocsparseL22gebsrmvn_mxn_16_kernelILj39ELj13ELj3EfEEvi20rocsparse_direction_NS_24const_host_device_scalarIT2_EEPKiS6_PKS3_iiS8_S4_PS3_21rocsparse_index_base_b,"axG",@progbits,_ZN9rocsparseL22gebsrmvn_mxn_16_kernelILj39ELj13ELj3EfEEvi20rocsparse_direction_NS_24const_host_device_scalarIT2_EEPKiS6_PKS3_iiS8_S4_PS3_21rocsparse_index_base_b,comdat
.Lfunc_end2:
	.size	_ZN9rocsparseL22gebsrmvn_mxn_16_kernelILj39ELj13ELj3EfEEvi20rocsparse_direction_NS_24const_host_device_scalarIT2_EEPKiS6_PKS3_iiS8_S4_PS3_21rocsparse_index_base_b, .Lfunc_end2-_ZN9rocsparseL22gebsrmvn_mxn_16_kernelILj39ELj13ELj3EfEEvi20rocsparse_direction_NS_24const_host_device_scalarIT2_EEPKiS6_PKS3_iiS8_S4_PS3_21rocsparse_index_base_b
                                        ; -- End function
	.set _ZN9rocsparseL22gebsrmvn_mxn_16_kernelILj39ELj13ELj3EfEEvi20rocsparse_direction_NS_24const_host_device_scalarIT2_EEPKiS6_PKS3_iiS8_S4_PS3_21rocsparse_index_base_b.num_vgpr, 9
	.set _ZN9rocsparseL22gebsrmvn_mxn_16_kernelILj39ELj13ELj3EfEEvi20rocsparse_direction_NS_24const_host_device_scalarIT2_EEPKiS6_PKS3_iiS8_S4_PS3_21rocsparse_index_base_b.num_agpr, 0
	.set _ZN9rocsparseL22gebsrmvn_mxn_16_kernelILj39ELj13ELj3EfEEvi20rocsparse_direction_NS_24const_host_device_scalarIT2_EEPKiS6_PKS3_iiS8_S4_PS3_21rocsparse_index_base_b.numbered_sgpr, 20
	.set _ZN9rocsparseL22gebsrmvn_mxn_16_kernelILj39ELj13ELj3EfEEvi20rocsparse_direction_NS_24const_host_device_scalarIT2_EEPKiS6_PKS3_iiS8_S4_PS3_21rocsparse_index_base_b.num_named_barrier, 0
	.set _ZN9rocsparseL22gebsrmvn_mxn_16_kernelILj39ELj13ELj3EfEEvi20rocsparse_direction_NS_24const_host_device_scalarIT2_EEPKiS6_PKS3_iiS8_S4_PS3_21rocsparse_index_base_b.private_seg_size, 0
	.set _ZN9rocsparseL22gebsrmvn_mxn_16_kernelILj39ELj13ELj3EfEEvi20rocsparse_direction_NS_24const_host_device_scalarIT2_EEPKiS6_PKS3_iiS8_S4_PS3_21rocsparse_index_base_b.uses_vcc, 1
	.set _ZN9rocsparseL22gebsrmvn_mxn_16_kernelILj39ELj13ELj3EfEEvi20rocsparse_direction_NS_24const_host_device_scalarIT2_EEPKiS6_PKS3_iiS8_S4_PS3_21rocsparse_index_base_b.uses_flat_scratch, 0
	.set _ZN9rocsparseL22gebsrmvn_mxn_16_kernelILj39ELj13ELj3EfEEvi20rocsparse_direction_NS_24const_host_device_scalarIT2_EEPKiS6_PKS3_iiS8_S4_PS3_21rocsparse_index_base_b.has_dyn_sized_stack, 0
	.set _ZN9rocsparseL22gebsrmvn_mxn_16_kernelILj39ELj13ELj3EfEEvi20rocsparse_direction_NS_24const_host_device_scalarIT2_EEPKiS6_PKS3_iiS8_S4_PS3_21rocsparse_index_base_b.has_recursion, 0
	.set _ZN9rocsparseL22gebsrmvn_mxn_16_kernelILj39ELj13ELj3EfEEvi20rocsparse_direction_NS_24const_host_device_scalarIT2_EEPKiS6_PKS3_iiS8_S4_PS3_21rocsparse_index_base_b.has_indirect_call, 0
	.section	.AMDGPU.csdata,"",@progbits
; Kernel info:
; codeLenInByte = 976
; TotalNumSgprs: 22
; NumVgprs: 9
; ScratchSize: 0
; MemoryBound: 0
; FloatMode: 240
; IeeeMode: 1
; LDSByteSize: 156 bytes/workgroup (compile time only)
; SGPRBlocks: 0
; VGPRBlocks: 0
; NumSGPRsForWavesPerEU: 22
; NumVGPRsForWavesPerEU: 9
; NamedBarCnt: 0
; Occupancy: 16
; WaveLimiterHint : 1
; COMPUTE_PGM_RSRC2:SCRATCH_EN: 0
; COMPUTE_PGM_RSRC2:USER_SGPR: 2
; COMPUTE_PGM_RSRC2:TRAP_HANDLER: 0
; COMPUTE_PGM_RSRC2:TGID_X_EN: 1
; COMPUTE_PGM_RSRC2:TGID_Y_EN: 0
; COMPUTE_PGM_RSRC2:TGID_Z_EN: 0
; COMPUTE_PGM_RSRC2:TIDIG_COMP_CNT: 0
	.section	.text._ZN9rocsparseL22gebsrmvn_mxn_16_kernelILj52ELj13ELj4EfEEvi20rocsparse_direction_NS_24const_host_device_scalarIT2_EEPKiS6_PKS3_iiS8_S4_PS3_21rocsparse_index_base_b,"axG",@progbits,_ZN9rocsparseL22gebsrmvn_mxn_16_kernelILj52ELj13ELj4EfEEvi20rocsparse_direction_NS_24const_host_device_scalarIT2_EEPKiS6_PKS3_iiS8_S4_PS3_21rocsparse_index_base_b,comdat
	.globl	_ZN9rocsparseL22gebsrmvn_mxn_16_kernelILj52ELj13ELj4EfEEvi20rocsparse_direction_NS_24const_host_device_scalarIT2_EEPKiS6_PKS3_iiS8_S4_PS3_21rocsparse_index_base_b ; -- Begin function _ZN9rocsparseL22gebsrmvn_mxn_16_kernelILj52ELj13ELj4EfEEvi20rocsparse_direction_NS_24const_host_device_scalarIT2_EEPKiS6_PKS3_iiS8_S4_PS3_21rocsparse_index_base_b
	.p2align	8
	.type	_ZN9rocsparseL22gebsrmvn_mxn_16_kernelILj52ELj13ELj4EfEEvi20rocsparse_direction_NS_24const_host_device_scalarIT2_EEPKiS6_PKS3_iiS8_S4_PS3_21rocsparse_index_base_b,@function
_ZN9rocsparseL22gebsrmvn_mxn_16_kernelILj52ELj13ELj4EfEEvi20rocsparse_direction_NS_24const_host_device_scalarIT2_EEPKiS6_PKS3_iiS8_S4_PS3_21rocsparse_index_base_b: ; @_ZN9rocsparseL22gebsrmvn_mxn_16_kernelILj52ELj13ELj4EfEEvi20rocsparse_direction_NS_24const_host_device_scalarIT2_EEPKiS6_PKS3_iiS8_S4_PS3_21rocsparse_index_base_b
; %bb.0:
	s_clause 0x2
	s_load_b64 s[14:15], s[0:1], 0x48
	s_load_b64 s[8:9], s[0:1], 0x8
	;; [unrolled: 1-line block ×3, first 2 shown]
	s_wait_kmcnt 0x0
	s_bitcmp1_b32 s15, 0
	s_cselect_b32 s4, -1, 0
	s_delay_alu instid0(SALU_CYCLE_1)
	s_and_b32 vcc_lo, exec_lo, s4
	s_xor_b32 s4, s4, -1
	s_cbranch_vccnz .LBB3_2
; %bb.1:
	s_load_b32 s8, s[8:9], 0x0
.LBB3_2:
	s_and_not1_b32 vcc_lo, exec_lo, s4
	s_cbranch_vccnz .LBB3_4
; %bb.3:
	s_load_b32 s2, s[2:3], 0x0
.LBB3_4:
	s_wait_kmcnt 0x0
	s_cmp_eq_f32 s8, 0
	s_cselect_b32 s3, -1, 0
	s_cmp_eq_f32 s2, 1.0
	s_cselect_b32 s4, -1, 0
	s_delay_alu instid0(SALU_CYCLE_1) | instskip(NEXT) | instid1(SALU_CYCLE_1)
	s_and_b32 s3, s3, s4
	s_and_b32 vcc_lo, exec_lo, s3
	s_cbranch_vccnz .LBB3_32
; %bb.5:
	s_clause 0x1
	s_load_b32 s3, s[0:1], 0x4
	s_load_b64 s[4:5], s[0:1], 0x10
	v_and_b32_e32 v2, 3, v0
	s_delay_alu instid0(VALU_DEP_1) | instskip(SKIP_3) | instid1(SALU_CYCLE_1)
	v_mov_b32_e32 v3, v2
	s_wait_kmcnt 0x0
	s_cmp_lg_u32 s3, 1
	s_cselect_b32 s3, -1, 0
	s_and_b32 vcc_lo, exec_lo, s3
	s_cbranch_vccnz .LBB3_7
; %bb.6:
	v_mul_u32_u24_e32 v1, 0x13b2, v0
	s_delay_alu instid0(VALU_DEP_1)
	v_bfe_u32 v3, v1, 16, 2
.LBB3_7:
	s_bfe_u32 s6, ttmp6, 0x4000c
	s_and_b32 s7, ttmp6, 15
	s_add_co_i32 s6, s6, 1
	s_getreg_b32 s9, hwreg(HW_REG_IB_STS2, 6, 4)
	s_mul_i32 s6, ttmp9, s6
	v_mov_b32_e32 v1, 0
	s_add_co_i32 s7, s7, s6
	s_cmp_eq_u32 s9, 0
	s_cselect_b32 s12, ttmp9, s7
	s_delay_alu instid0(SALU_CYCLE_1) | instskip(NEXT) | instid1(SALU_CYCLE_1)
	s_ashr_i32 s13, s12, 31
	s_lshl_b64 s[6:7], s[12:13], 2
	s_delay_alu instid0(SALU_CYCLE_1)
	s_add_nc_u64 s[4:5], s[4:5], s[6:7]
	s_load_b64 s[18:19], s[4:5], 0x0
	s_load_b64 s[10:11], s[0:1], 0x40
	s_wait_kmcnt 0x0
	s_cmp_ge_i32 s18, s19
	s_cbranch_scc1 .LBB3_12
; %bb.8:
	s_clause 0x1
	s_load_b128 s[4:7], s[0:1], 0x18
	s_load_b64 s[16:17], s[0:1], 0x30
	v_mad_u32 v1, s18, 52, v0
	v_mul_u32_u24_e32 v4, 0x4ed, v0
	s_wait_xcnt 0x0
	s_mul_i32 s0, s14, 52
	s_sub_co_i32 s1, s18, s14
	s_delay_alu instid0(VALU_DEP_1) | instskip(NEXT) | instid1(VALU_DEP_3)
	v_lshrrev_b32_e32 v4, 16, v4
	v_subrev_nc_u32_e32 v5, s0, v1
	v_mov_b32_e32 v1, 0
	s_sub_co_i32 s0, s19, s14
	s_branch .LBB3_10
.LBB3_9:                                ;   in Loop: Header=BB3_10 Depth=1
	s_or_b32 exec_lo, exec_lo, s9
	v_add_nc_u32_e32 v5, 52, v5
	s_add_co_i32 s1, s1, 1
	s_delay_alu instid0(SALU_CYCLE_1)
	s_cmp_ge_i32 s1, s0
	s_cbranch_scc1 .LBB3_12
.LBB3_10:                               ; =>This Inner Loop Header: Depth=1
	v_add_nc_u32_e32 v6, s1, v4
	s_mov_b32 s9, exec_lo
	s_delay_alu instid0(VALU_DEP_1)
	v_cmpx_gt_i32_e64 s0, v6
	s_cbranch_execz .LBB3_9
; %bb.11:                               ;   in Loop: Header=BB3_10 Depth=1
	s_wait_kmcnt 0x0
	global_load_b32 v6, v6, s[4:5] scale_offset
	s_wait_loadcnt 0x0
	v_subrev_nc_u32_e32 v6, s14, v6
	s_delay_alu instid0(VALU_DEP_1)
	v_lshl_or_b32 v6, v6, 2, v3
	global_load_b32 v7, v5, s[6:7] scale_offset
	global_load_b32 v8, v6, s[16:17] scale_offset
	s_wait_loadcnt 0x0
	v_fmac_f32_e32 v1, v7, v8
	s_branch .LBB3_9
.LBB3_12:
	v_lshlrev_b32_e32 v3, 2, v0
	s_and_b32 vcc_lo, exec_lo, s3
	ds_store_b32 v3, v1
	s_wait_dscnt 0x0
	s_barrier_signal -1
	s_barrier_wait -1
	s_cbranch_vccz .LBB3_20
; %bb.13:
	s_mov_b32 s0, exec_lo
	v_cmpx_gt_u32_e32 2, v2
	s_cbranch_execz .LBB3_15
; %bb.14:
	ds_load_2addr_b32 v[4:5], v3 offset1:2
	s_wait_dscnt 0x0
	v_add_f32_e32 v4, v5, v4
	ds_store_b32 v3, v4
.LBB3_15:
	s_or_b32 exec_lo, exec_lo, s0
	s_delay_alu instid0(SALU_CYCLE_1)
	s_mov_b32 s0, exec_lo
	s_wait_dscnt 0x0
	s_barrier_signal -1
	s_barrier_wait -1
	v_cmpx_eq_u32_e32 0, v2
	s_cbranch_execz .LBB3_17
; %bb.16:
	ds_load_2addr_b32 v[4:5], v3 offset1:1
	s_wait_dscnt 0x0
	v_add_f32_e32 v2, v5, v4
	ds_store_b32 v3, v2
.LBB3_17:
	s_or_b32 exec_lo, exec_lo, s0
	v_mov_b32_e32 v2, v1
	s_mov_b32 s0, exec_lo
	s_wait_dscnt 0x0
	s_barrier_signal -1
	s_barrier_wait -1
	v_cmpx_gt_u32_e32 13, v0
; %bb.18:
	v_mad_u32_u24 v2, v0, 12, v3
	ds_load_b32 v2, v2
; %bb.19:
	s_or_b32 exec_lo, exec_lo, s0
	s_branch .LBB3_28
.LBB3_20:
                                        ; implicit-def: $vgpr2
	s_cbranch_execz .LBB3_28
; %bb.21:
	s_mov_b32 s0, exec_lo
	v_cmpx_gt_u32_e32 26, v0
	s_cbranch_execz .LBB3_23
; %bb.22:
	ds_load_2addr_b32 v[4:5], v3 offset1:26
	s_wait_dscnt 0x0
	v_add_f32_e32 v2, v5, v4
	ds_store_b32 v3, v2
.LBB3_23:
	s_or_b32 exec_lo, exec_lo, s0
	s_delay_alu instid0(SALU_CYCLE_1)
	s_mov_b32 s0, exec_lo
	s_wait_dscnt 0x0
	v_cmpx_lt_u32_e32 12, v0
	s_xor_b32 s0, exec_lo, s0
; %bb.24:
                                        ; implicit-def: $vgpr3
; %bb.25:
	s_delay_alu instid0(SALU_CYCLE_1)
	s_and_not1_saveexec_b32 s0, s0
	s_cbranch_execz .LBB3_27
; %bb.26:
	ds_load_2addr_b32 v[4:5], v3 offset1:13
	s_wait_dscnt 0x0
	v_add_f32_e32 v1, v5, v4
	ds_store_b32 v3, v1
	s_wait_dscnt 0x0
	ds_load_b32 v1, v3
.LBB3_27:
	s_or_b32 exec_lo, exec_lo, s0
	s_wait_dscnt 0x0
	v_mov_b32_e32 v2, v1
.LBB3_28:
	s_mov_b32 s0, exec_lo
	v_cmpx_gt_u32_e32 13, v0
	s_cbranch_execz .LBB3_32
; %bb.29:
	v_mad_u32 v0, s12, 13, v0
	s_wait_dscnt 0x0
	v_mul_f32_e32 v1, s8, v2
	s_cmp_eq_f32 s2, 0
	s_mov_b32 s0, 0
	s_cbranch_scc0 .LBB3_33
; %bb.30:
	global_store_b32 v0, v1, s[10:11] scale_offset
	s_and_not1_b32 vcc_lo, exec_lo, s0
	s_cbranch_vccnz .LBB3_32
.LBB3_31:
	global_load_b32 v2, v0, s[10:11] scale_offset
	s_wait_loadcnt 0x0
	s_wait_xcnt 0x1
	v_fmac_f32_e32 v1, s2, v2
	global_store_b32 v0, v1, s[10:11] scale_offset
.LBB3_32:
	s_endpgm
.LBB3_33:
	s_branch .LBB3_31
	.section	.rodata,"a",@progbits
	.p2align	6, 0x0
	.amdhsa_kernel _ZN9rocsparseL22gebsrmvn_mxn_16_kernelILj52ELj13ELj4EfEEvi20rocsparse_direction_NS_24const_host_device_scalarIT2_EEPKiS6_PKS3_iiS8_S4_PS3_21rocsparse_index_base_b
		.amdhsa_group_segment_fixed_size 208
		.amdhsa_private_segment_fixed_size 0
		.amdhsa_kernarg_size 80
		.amdhsa_user_sgpr_count 2
		.amdhsa_user_sgpr_dispatch_ptr 0
		.amdhsa_user_sgpr_queue_ptr 0
		.amdhsa_user_sgpr_kernarg_segment_ptr 1
		.amdhsa_user_sgpr_dispatch_id 0
		.amdhsa_user_sgpr_kernarg_preload_length 0
		.amdhsa_user_sgpr_kernarg_preload_offset 0
		.amdhsa_user_sgpr_private_segment_size 0
		.amdhsa_wavefront_size32 1
		.amdhsa_uses_dynamic_stack 0
		.amdhsa_enable_private_segment 0
		.amdhsa_system_sgpr_workgroup_id_x 1
		.amdhsa_system_sgpr_workgroup_id_y 0
		.amdhsa_system_sgpr_workgroup_id_z 0
		.amdhsa_system_sgpr_workgroup_info 0
		.amdhsa_system_vgpr_workitem_id 0
		.amdhsa_next_free_vgpr 9
		.amdhsa_next_free_sgpr 20
		.amdhsa_named_barrier_count 0
		.amdhsa_reserve_vcc 1
		.amdhsa_float_round_mode_32 0
		.amdhsa_float_round_mode_16_64 0
		.amdhsa_float_denorm_mode_32 3
		.amdhsa_float_denorm_mode_16_64 3
		.amdhsa_fp16_overflow 0
		.amdhsa_memory_ordered 1
		.amdhsa_forward_progress 1
		.amdhsa_inst_pref_size 7
		.amdhsa_round_robin_scheduling 0
		.amdhsa_exception_fp_ieee_invalid_op 0
		.amdhsa_exception_fp_denorm_src 0
		.amdhsa_exception_fp_ieee_div_zero 0
		.amdhsa_exception_fp_ieee_overflow 0
		.amdhsa_exception_fp_ieee_underflow 0
		.amdhsa_exception_fp_ieee_inexact 0
		.amdhsa_exception_int_div_zero 0
	.end_amdhsa_kernel
	.section	.text._ZN9rocsparseL22gebsrmvn_mxn_16_kernelILj52ELj13ELj4EfEEvi20rocsparse_direction_NS_24const_host_device_scalarIT2_EEPKiS6_PKS3_iiS8_S4_PS3_21rocsparse_index_base_b,"axG",@progbits,_ZN9rocsparseL22gebsrmvn_mxn_16_kernelILj52ELj13ELj4EfEEvi20rocsparse_direction_NS_24const_host_device_scalarIT2_EEPKiS6_PKS3_iiS8_S4_PS3_21rocsparse_index_base_b,comdat
.Lfunc_end3:
	.size	_ZN9rocsparseL22gebsrmvn_mxn_16_kernelILj52ELj13ELj4EfEEvi20rocsparse_direction_NS_24const_host_device_scalarIT2_EEPKiS6_PKS3_iiS8_S4_PS3_21rocsparse_index_base_b, .Lfunc_end3-_ZN9rocsparseL22gebsrmvn_mxn_16_kernelILj52ELj13ELj4EfEEvi20rocsparse_direction_NS_24const_host_device_scalarIT2_EEPKiS6_PKS3_iiS8_S4_PS3_21rocsparse_index_base_b
                                        ; -- End function
	.set _ZN9rocsparseL22gebsrmvn_mxn_16_kernelILj52ELj13ELj4EfEEvi20rocsparse_direction_NS_24const_host_device_scalarIT2_EEPKiS6_PKS3_iiS8_S4_PS3_21rocsparse_index_base_b.num_vgpr, 9
	.set _ZN9rocsparseL22gebsrmvn_mxn_16_kernelILj52ELj13ELj4EfEEvi20rocsparse_direction_NS_24const_host_device_scalarIT2_EEPKiS6_PKS3_iiS8_S4_PS3_21rocsparse_index_base_b.num_agpr, 0
	.set _ZN9rocsparseL22gebsrmvn_mxn_16_kernelILj52ELj13ELj4EfEEvi20rocsparse_direction_NS_24const_host_device_scalarIT2_EEPKiS6_PKS3_iiS8_S4_PS3_21rocsparse_index_base_b.numbered_sgpr, 20
	.set _ZN9rocsparseL22gebsrmvn_mxn_16_kernelILj52ELj13ELj4EfEEvi20rocsparse_direction_NS_24const_host_device_scalarIT2_EEPKiS6_PKS3_iiS8_S4_PS3_21rocsparse_index_base_b.num_named_barrier, 0
	.set _ZN9rocsparseL22gebsrmvn_mxn_16_kernelILj52ELj13ELj4EfEEvi20rocsparse_direction_NS_24const_host_device_scalarIT2_EEPKiS6_PKS3_iiS8_S4_PS3_21rocsparse_index_base_b.private_seg_size, 0
	.set _ZN9rocsparseL22gebsrmvn_mxn_16_kernelILj52ELj13ELj4EfEEvi20rocsparse_direction_NS_24const_host_device_scalarIT2_EEPKiS6_PKS3_iiS8_S4_PS3_21rocsparse_index_base_b.uses_vcc, 1
	.set _ZN9rocsparseL22gebsrmvn_mxn_16_kernelILj52ELj13ELj4EfEEvi20rocsparse_direction_NS_24const_host_device_scalarIT2_EEPKiS6_PKS3_iiS8_S4_PS3_21rocsparse_index_base_b.uses_flat_scratch, 0
	.set _ZN9rocsparseL22gebsrmvn_mxn_16_kernelILj52ELj13ELj4EfEEvi20rocsparse_direction_NS_24const_host_device_scalarIT2_EEPKiS6_PKS3_iiS8_S4_PS3_21rocsparse_index_base_b.has_dyn_sized_stack, 0
	.set _ZN9rocsparseL22gebsrmvn_mxn_16_kernelILj52ELj13ELj4EfEEvi20rocsparse_direction_NS_24const_host_device_scalarIT2_EEPKiS6_PKS3_iiS8_S4_PS3_21rocsparse_index_base_b.has_recursion, 0
	.set _ZN9rocsparseL22gebsrmvn_mxn_16_kernelILj52ELj13ELj4EfEEvi20rocsparse_direction_NS_24const_host_device_scalarIT2_EEPKiS6_PKS3_iiS8_S4_PS3_21rocsparse_index_base_b.has_indirect_call, 0
	.section	.AMDGPU.csdata,"",@progbits
; Kernel info:
; codeLenInByte = 872
; TotalNumSgprs: 22
; NumVgprs: 9
; ScratchSize: 0
; MemoryBound: 0
; FloatMode: 240
; IeeeMode: 1
; LDSByteSize: 208 bytes/workgroup (compile time only)
; SGPRBlocks: 0
; VGPRBlocks: 0
; NumSGPRsForWavesPerEU: 22
; NumVGPRsForWavesPerEU: 9
; NamedBarCnt: 0
; Occupancy: 16
; WaveLimiterHint : 1
; COMPUTE_PGM_RSRC2:SCRATCH_EN: 0
; COMPUTE_PGM_RSRC2:USER_SGPR: 2
; COMPUTE_PGM_RSRC2:TRAP_HANDLER: 0
; COMPUTE_PGM_RSRC2:TGID_X_EN: 1
; COMPUTE_PGM_RSRC2:TGID_Y_EN: 0
; COMPUTE_PGM_RSRC2:TGID_Z_EN: 0
; COMPUTE_PGM_RSRC2:TIDIG_COMP_CNT: 0
	.section	.text._ZN9rocsparseL22gebsrmvn_mxn_16_kernelILj65ELj13ELj5EfEEvi20rocsparse_direction_NS_24const_host_device_scalarIT2_EEPKiS6_PKS3_iiS8_S4_PS3_21rocsparse_index_base_b,"axG",@progbits,_ZN9rocsparseL22gebsrmvn_mxn_16_kernelILj65ELj13ELj5EfEEvi20rocsparse_direction_NS_24const_host_device_scalarIT2_EEPKiS6_PKS3_iiS8_S4_PS3_21rocsparse_index_base_b,comdat
	.globl	_ZN9rocsparseL22gebsrmvn_mxn_16_kernelILj65ELj13ELj5EfEEvi20rocsparse_direction_NS_24const_host_device_scalarIT2_EEPKiS6_PKS3_iiS8_S4_PS3_21rocsparse_index_base_b ; -- Begin function _ZN9rocsparseL22gebsrmvn_mxn_16_kernelILj65ELj13ELj5EfEEvi20rocsparse_direction_NS_24const_host_device_scalarIT2_EEPKiS6_PKS3_iiS8_S4_PS3_21rocsparse_index_base_b
	.p2align	8
	.type	_ZN9rocsparseL22gebsrmvn_mxn_16_kernelILj65ELj13ELj5EfEEvi20rocsparse_direction_NS_24const_host_device_scalarIT2_EEPKiS6_PKS3_iiS8_S4_PS3_21rocsparse_index_base_b,@function
_ZN9rocsparseL22gebsrmvn_mxn_16_kernelILj65ELj13ELj5EfEEvi20rocsparse_direction_NS_24const_host_device_scalarIT2_EEPKiS6_PKS3_iiS8_S4_PS3_21rocsparse_index_base_b: ; @_ZN9rocsparseL22gebsrmvn_mxn_16_kernelILj65ELj13ELj5EfEEvi20rocsparse_direction_NS_24const_host_device_scalarIT2_EEPKiS6_PKS3_iiS8_S4_PS3_21rocsparse_index_base_b
; %bb.0:
	s_clause 0x2
	s_load_b64 s[14:15], s[0:1], 0x48
	s_load_b64 s[8:9], s[0:1], 0x8
	s_load_b64 s[2:3], s[0:1], 0x38
	s_wait_kmcnt 0x0
	s_bitcmp1_b32 s15, 0
	s_cselect_b32 s4, -1, 0
	s_delay_alu instid0(SALU_CYCLE_1)
	s_and_b32 vcc_lo, exec_lo, s4
	s_xor_b32 s4, s4, -1
	s_cbranch_vccnz .LBB4_2
; %bb.1:
	s_load_b32 s8, s[8:9], 0x0
.LBB4_2:
	s_and_not1_b32 vcc_lo, exec_lo, s4
	s_cbranch_vccnz .LBB4_4
; %bb.3:
	s_load_b32 s2, s[2:3], 0x0
.LBB4_4:
	s_wait_kmcnt 0x0
	s_cmp_eq_f32 s8, 0
	s_cselect_b32 s3, -1, 0
	s_cmp_eq_f32 s2, 1.0
	s_cselect_b32 s4, -1, 0
	s_delay_alu instid0(SALU_CYCLE_1) | instskip(NEXT) | instid1(SALU_CYCLE_1)
	s_and_b32 s3, s3, s4
	s_and_b32 vcc_lo, exec_lo, s3
	s_cbranch_vccnz .LBB4_36
; %bb.5:
	v_mul_u32_u24_e32 v1, 0x3334, v0
	s_clause 0x1
	s_load_b32 s3, s[0:1], 0x4
	s_load_b64 s[4:5], s[0:1], 0x10
	v_and_b32_e32 v4, 0xffff, v0
	v_lshrrev_b32_e32 v1, 16, v1
	s_delay_alu instid0(VALU_DEP_1) | instskip(NEXT) | instid1(VALU_DEP_1)
	v_mul_lo_u16 v1, v1, 5
	v_sub_nc_u16 v1, v0, v1
	s_delay_alu instid0(VALU_DEP_1) | instskip(SKIP_3) | instid1(SALU_CYCLE_1)
	v_and_b32_e32 v3, 0xffff, v1
	s_wait_kmcnt 0x0
	s_cmp_lg_u32 s3, 1
	s_cselect_b32 s3, -1, 0
	s_and_b32 vcc_lo, exec_lo, s3
	v_mov_b32_e32 v2, v3
	s_cbranch_vccnz .LBB4_7
; %bb.6:
	v_mul_u32_u24_e32 v1, 0x13b2, v4
	s_delay_alu instid0(VALU_DEP_1) | instskip(NEXT) | instid1(VALU_DEP_1)
	v_lshrrev_b32_e32 v1, 16, v1
	v_mul_lo_u16 v2, v1, 52
	s_delay_alu instid0(VALU_DEP_1) | instskip(NEXT) | instid1(VALU_DEP_1)
	v_lshrrev_b16 v2, 8, v2
	v_mul_lo_u16 v2, v2, 5
	s_delay_alu instid0(VALU_DEP_1) | instskip(NEXT) | instid1(VALU_DEP_1)
	v_sub_nc_u16 v1, v1, v2
	v_and_b32_e32 v2, 0xff, v1
.LBB4_7:
	s_bfe_u32 s6, ttmp6, 0x4000c
	s_and_b32 s7, ttmp6, 15
	s_add_co_i32 s6, s6, 1
	s_getreg_b32 s9, hwreg(HW_REG_IB_STS2, 6, 4)
	s_mul_i32 s6, ttmp9, s6
	v_mov_b32_e32 v1, 0
	s_add_co_i32 s7, s7, s6
	s_cmp_eq_u32 s9, 0
	s_cselect_b32 s12, ttmp9, s7
	s_delay_alu instid0(SALU_CYCLE_1) | instskip(NEXT) | instid1(SALU_CYCLE_1)
	s_ashr_i32 s13, s12, 31
	s_lshl_b64 s[6:7], s[12:13], 2
	s_delay_alu instid0(SALU_CYCLE_1)
	s_add_nc_u64 s[4:5], s[4:5], s[6:7]
	s_load_b64 s[18:19], s[4:5], 0x0
	s_load_b64 s[10:11], s[0:1], 0x40
	s_wait_kmcnt 0x0
	s_cmp_ge_i32 s18, s19
	s_cbranch_scc1 .LBB4_12
; %bb.8:
	s_clause 0x1
	s_load_b128 s[4:7], s[0:1], 0x18
	s_load_b64 s[16:17], s[0:1], 0x30
	v_mad_u32 v1, 0x41, s18, v0
	v_mul_u32_u24_e32 v4, 0x3f1, v4
	s_wait_xcnt 0x0
	s_mul_i32 s0, s14, 0x41
	s_sub_co_i32 s1, s18, s14
	s_delay_alu instid0(VALU_DEP_1) | instskip(NEXT) | instid1(VALU_DEP_3)
	v_lshrrev_b32_e32 v4, 16, v4
	v_subrev_nc_u32_e32 v5, s0, v1
	v_mov_b32_e32 v1, 0
	s_sub_co_i32 s0, s19, s14
	s_branch .LBB4_10
.LBB4_9:                                ;   in Loop: Header=BB4_10 Depth=1
	s_or_b32 exec_lo, exec_lo, s9
	v_add_nc_u32_e32 v5, 0x41, v5
	s_add_co_i32 s1, s1, 1
	s_delay_alu instid0(SALU_CYCLE_1)
	s_cmp_ge_i32 s1, s0
	s_cbranch_scc1 .LBB4_12
.LBB4_10:                               ; =>This Inner Loop Header: Depth=1
	v_add_nc_u32_e32 v6, s1, v4
	s_mov_b32 s9, exec_lo
	s_delay_alu instid0(VALU_DEP_1)
	v_cmpx_gt_i32_e64 s0, v6
	s_cbranch_execz .LBB4_9
; %bb.11:                               ;   in Loop: Header=BB4_10 Depth=1
	s_wait_kmcnt 0x0
	global_load_b32 v6, v6, s[4:5] scale_offset
	s_wait_loadcnt 0x0
	v_subrev_nc_u32_e32 v6, s14, v6
	s_delay_alu instid0(VALU_DEP_1)
	v_mad_u32 v6, v6, 5, v2
	global_load_b32 v7, v5, s[6:7] scale_offset
	global_load_b32 v8, v6, s[16:17] scale_offset
	s_wait_loadcnt 0x0
	v_fmac_f32_e32 v1, v7, v8
	s_branch .LBB4_9
.LBB4_12:
	v_lshlrev_b32_e32 v2, 2, v0
	s_and_b32 vcc_lo, exec_lo, s3
	ds_store_b32 v2, v1
	s_wait_dscnt 0x0
	s_barrier_signal -1
	s_barrier_wait -1
	s_cbranch_vccz .LBB4_22
; %bb.13:
	v_cmp_eq_u16_e32 vcc_lo, 0, v3
	s_and_saveexec_b32 s0, vcc_lo
	s_cbranch_execz .LBB4_15
; %bb.14:
	ds_load_2addr_b32 v[4:5], v2 offset1:4
	s_wait_dscnt 0x0
	v_add_f32_e32 v4, v5, v4
	ds_store_b32 v2, v4
.LBB4_15:
	s_or_b32 exec_lo, exec_lo, s0
	s_delay_alu instid0(SALU_CYCLE_1)
	s_mov_b32 s1, exec_lo
	s_wait_dscnt 0x0
	s_barrier_signal -1
	s_barrier_wait -1
	v_cmpx_gt_u16_e32 2, v3
	s_cbranch_execz .LBB4_17
; %bb.16:
	ds_load_2addr_b32 v[4:5], v2 offset1:2
	s_wait_dscnt 0x0
	v_add_f32_e32 v3, v5, v4
	ds_store_b32 v2, v3
.LBB4_17:
	s_or_b32 exec_lo, exec_lo, s1
	s_wait_dscnt 0x0
	s_barrier_signal -1
	s_barrier_wait -1
	s_and_saveexec_b32 s0, vcc_lo
	s_cbranch_execz .LBB4_19
; %bb.18:
	ds_load_2addr_b32 v[4:5], v2 offset1:1
	s_wait_dscnt 0x0
	v_add_f32_e32 v3, v5, v4
	ds_store_b32 v2, v3
.LBB4_19:
	s_or_b32 exec_lo, exec_lo, s0
	v_mov_b32_e32 v3, v1
	s_mov_b32 s0, exec_lo
	s_wait_dscnt 0x0
	s_barrier_signal -1
	s_barrier_wait -1
	v_cmpx_gt_u32_e32 13, v0
; %bb.20:
	v_lshl_add_u32 v3, v0, 4, v2
	ds_load_b32 v3, v3
; %bb.21:
	s_or_b32 exec_lo, exec_lo, s0
	v_cmp_gt_u32_e64 s0, 13, v0
	s_branch .LBB4_32
.LBB4_22:
                                        ; implicit-def: $vgpr3
	v_cmp_gt_u32_e64 s0, 13, v0
	s_cbranch_execz .LBB4_32
; %bb.23:
	v_cmp_lt_u32_e32 vcc_lo, 12, v0
	s_and_saveexec_b32 s1, s0
	s_cbranch_execz .LBB4_25
; %bb.24:
	ds_load_2addr_b32 v[4:5], v2 offset1:52
	s_wait_dscnt 0x0
	v_add_f32_e32 v3, v5, v4
	ds_store_b32 v2, v3
.LBB4_25:
	s_or_b32 exec_lo, exec_lo, s1
	s_delay_alu instid0(SALU_CYCLE_1)
	s_mov_b32 s1, exec_lo
	s_wait_dscnt 0x0
	s_barrier_signal -1
	s_barrier_wait -1
	v_cmpx_gt_u32_e32 26, v0
	s_cbranch_execz .LBB4_27
; %bb.26:
	ds_load_2addr_b32 v[4:5], v2 offset1:26
	s_wait_dscnt 0x0
	v_add_f32_e32 v3, v5, v4
	ds_store_b32 v2, v3
.LBB4_27:
	s_or_b32 exec_lo, exec_lo, s1
	s_wait_dscnt 0x0
	s_and_saveexec_b32 s0, vcc_lo
	s_delay_alu instid0(SALU_CYCLE_1)
	s_xor_b32 s0, exec_lo, s0
; %bb.28:
                                        ; implicit-def: $vgpr2
; %bb.29:
	s_delay_alu instid0(SALU_CYCLE_1)
	s_and_not1_saveexec_b32 s0, s0
	s_cbranch_execz .LBB4_31
; %bb.30:
	ds_load_2addr_b32 v[4:5], v2 offset1:13
	s_wait_dscnt 0x0
	v_add_f32_e32 v1, v5, v4
	ds_store_b32 v2, v1
	s_wait_dscnt 0x0
	ds_load_b32 v1, v2
.LBB4_31:
	s_or_b32 exec_lo, exec_lo, s0
	s_wait_dscnt 0x0
	v_mov_b32_e32 v3, v1
.LBB4_32:
	s_mov_b32 s0, exec_lo
	v_cmpx_gt_u32_e32 13, v0
	s_cbranch_execz .LBB4_36
; %bb.33:
	v_mad_u32 v0, s12, 13, v0
	s_wait_dscnt 0x0
	v_mul_f32_e32 v1, s8, v3
	s_cmp_eq_f32 s2, 0
	s_mov_b32 s0, 0
	s_cbranch_scc0 .LBB4_37
; %bb.34:
	global_store_b32 v0, v1, s[10:11] scale_offset
	s_and_not1_b32 vcc_lo, exec_lo, s0
	s_cbranch_vccnz .LBB4_36
.LBB4_35:
	global_load_b32 v2, v0, s[10:11] scale_offset
	s_wait_loadcnt 0x0
	s_wait_xcnt 0x1
	v_fmac_f32_e32 v1, s2, v2
	global_store_b32 v0, v1, s[10:11] scale_offset
.LBB4_36:
	s_endpgm
.LBB4_37:
	s_branch .LBB4_35
	.section	.rodata,"a",@progbits
	.p2align	6, 0x0
	.amdhsa_kernel _ZN9rocsparseL22gebsrmvn_mxn_16_kernelILj65ELj13ELj5EfEEvi20rocsparse_direction_NS_24const_host_device_scalarIT2_EEPKiS6_PKS3_iiS8_S4_PS3_21rocsparse_index_base_b
		.amdhsa_group_segment_fixed_size 260
		.amdhsa_private_segment_fixed_size 0
		.amdhsa_kernarg_size 80
		.amdhsa_user_sgpr_count 2
		.amdhsa_user_sgpr_dispatch_ptr 0
		.amdhsa_user_sgpr_queue_ptr 0
		.amdhsa_user_sgpr_kernarg_segment_ptr 1
		.amdhsa_user_sgpr_dispatch_id 0
		.amdhsa_user_sgpr_kernarg_preload_length 0
		.amdhsa_user_sgpr_kernarg_preload_offset 0
		.amdhsa_user_sgpr_private_segment_size 0
		.amdhsa_wavefront_size32 1
		.amdhsa_uses_dynamic_stack 0
		.amdhsa_enable_private_segment 0
		.amdhsa_system_sgpr_workgroup_id_x 1
		.amdhsa_system_sgpr_workgroup_id_y 0
		.amdhsa_system_sgpr_workgroup_id_z 0
		.amdhsa_system_sgpr_workgroup_info 0
		.amdhsa_system_vgpr_workitem_id 0
		.amdhsa_next_free_vgpr 9
		.amdhsa_next_free_sgpr 20
		.amdhsa_named_barrier_count 0
		.amdhsa_reserve_vcc 1
		.amdhsa_float_round_mode_32 0
		.amdhsa_float_round_mode_16_64 0
		.amdhsa_float_denorm_mode_32 3
		.amdhsa_float_denorm_mode_16_64 3
		.amdhsa_fp16_overflow 0
		.amdhsa_memory_ordered 1
		.amdhsa_forward_progress 1
		.amdhsa_inst_pref_size 9
		.amdhsa_round_robin_scheduling 0
		.amdhsa_exception_fp_ieee_invalid_op 0
		.amdhsa_exception_fp_denorm_src 0
		.amdhsa_exception_fp_ieee_div_zero 0
		.amdhsa_exception_fp_ieee_overflow 0
		.amdhsa_exception_fp_ieee_underflow 0
		.amdhsa_exception_fp_ieee_inexact 0
		.amdhsa_exception_int_div_zero 0
	.end_amdhsa_kernel
	.section	.text._ZN9rocsparseL22gebsrmvn_mxn_16_kernelILj65ELj13ELj5EfEEvi20rocsparse_direction_NS_24const_host_device_scalarIT2_EEPKiS6_PKS3_iiS8_S4_PS3_21rocsparse_index_base_b,"axG",@progbits,_ZN9rocsparseL22gebsrmvn_mxn_16_kernelILj65ELj13ELj5EfEEvi20rocsparse_direction_NS_24const_host_device_scalarIT2_EEPKiS6_PKS3_iiS8_S4_PS3_21rocsparse_index_base_b,comdat
.Lfunc_end4:
	.size	_ZN9rocsparseL22gebsrmvn_mxn_16_kernelILj65ELj13ELj5EfEEvi20rocsparse_direction_NS_24const_host_device_scalarIT2_EEPKiS6_PKS3_iiS8_S4_PS3_21rocsparse_index_base_b, .Lfunc_end4-_ZN9rocsparseL22gebsrmvn_mxn_16_kernelILj65ELj13ELj5EfEEvi20rocsparse_direction_NS_24const_host_device_scalarIT2_EEPKiS6_PKS3_iiS8_S4_PS3_21rocsparse_index_base_b
                                        ; -- End function
	.set _ZN9rocsparseL22gebsrmvn_mxn_16_kernelILj65ELj13ELj5EfEEvi20rocsparse_direction_NS_24const_host_device_scalarIT2_EEPKiS6_PKS3_iiS8_S4_PS3_21rocsparse_index_base_b.num_vgpr, 9
	.set _ZN9rocsparseL22gebsrmvn_mxn_16_kernelILj65ELj13ELj5EfEEvi20rocsparse_direction_NS_24const_host_device_scalarIT2_EEPKiS6_PKS3_iiS8_S4_PS3_21rocsparse_index_base_b.num_agpr, 0
	.set _ZN9rocsparseL22gebsrmvn_mxn_16_kernelILj65ELj13ELj5EfEEvi20rocsparse_direction_NS_24const_host_device_scalarIT2_EEPKiS6_PKS3_iiS8_S4_PS3_21rocsparse_index_base_b.numbered_sgpr, 20
	.set _ZN9rocsparseL22gebsrmvn_mxn_16_kernelILj65ELj13ELj5EfEEvi20rocsparse_direction_NS_24const_host_device_scalarIT2_EEPKiS6_PKS3_iiS8_S4_PS3_21rocsparse_index_base_b.num_named_barrier, 0
	.set _ZN9rocsparseL22gebsrmvn_mxn_16_kernelILj65ELj13ELj5EfEEvi20rocsparse_direction_NS_24const_host_device_scalarIT2_EEPKiS6_PKS3_iiS8_S4_PS3_21rocsparse_index_base_b.private_seg_size, 0
	.set _ZN9rocsparseL22gebsrmvn_mxn_16_kernelILj65ELj13ELj5EfEEvi20rocsparse_direction_NS_24const_host_device_scalarIT2_EEPKiS6_PKS3_iiS8_S4_PS3_21rocsparse_index_base_b.uses_vcc, 1
	.set _ZN9rocsparseL22gebsrmvn_mxn_16_kernelILj65ELj13ELj5EfEEvi20rocsparse_direction_NS_24const_host_device_scalarIT2_EEPKiS6_PKS3_iiS8_S4_PS3_21rocsparse_index_base_b.uses_flat_scratch, 0
	.set _ZN9rocsparseL22gebsrmvn_mxn_16_kernelILj65ELj13ELj5EfEEvi20rocsparse_direction_NS_24const_host_device_scalarIT2_EEPKiS6_PKS3_iiS8_S4_PS3_21rocsparse_index_base_b.has_dyn_sized_stack, 0
	.set _ZN9rocsparseL22gebsrmvn_mxn_16_kernelILj65ELj13ELj5EfEEvi20rocsparse_direction_NS_24const_host_device_scalarIT2_EEPKiS6_PKS3_iiS8_S4_PS3_21rocsparse_index_base_b.has_recursion, 0
	.set _ZN9rocsparseL22gebsrmvn_mxn_16_kernelILj65ELj13ELj5EfEEvi20rocsparse_direction_NS_24const_host_device_scalarIT2_EEPKiS6_PKS3_iiS8_S4_PS3_21rocsparse_index_base_b.has_indirect_call, 0
	.section	.AMDGPU.csdata,"",@progbits
; Kernel info:
; codeLenInByte = 1088
; TotalNumSgprs: 22
; NumVgprs: 9
; ScratchSize: 0
; MemoryBound: 0
; FloatMode: 240
; IeeeMode: 1
; LDSByteSize: 260 bytes/workgroup (compile time only)
; SGPRBlocks: 0
; VGPRBlocks: 0
; NumSGPRsForWavesPerEU: 22
; NumVGPRsForWavesPerEU: 9
; NamedBarCnt: 0
; Occupancy: 16
; WaveLimiterHint : 1
; COMPUTE_PGM_RSRC2:SCRATCH_EN: 0
; COMPUTE_PGM_RSRC2:USER_SGPR: 2
; COMPUTE_PGM_RSRC2:TRAP_HANDLER: 0
; COMPUTE_PGM_RSRC2:TGID_X_EN: 1
; COMPUTE_PGM_RSRC2:TGID_Y_EN: 0
; COMPUTE_PGM_RSRC2:TGID_Z_EN: 0
; COMPUTE_PGM_RSRC2:TIDIG_COMP_CNT: 0
	.section	.text._ZN9rocsparseL22gebsrmvn_mxn_16_kernelILj78ELj13ELj6EfEEvi20rocsparse_direction_NS_24const_host_device_scalarIT2_EEPKiS6_PKS3_iiS8_S4_PS3_21rocsparse_index_base_b,"axG",@progbits,_ZN9rocsparseL22gebsrmvn_mxn_16_kernelILj78ELj13ELj6EfEEvi20rocsparse_direction_NS_24const_host_device_scalarIT2_EEPKiS6_PKS3_iiS8_S4_PS3_21rocsparse_index_base_b,comdat
	.globl	_ZN9rocsparseL22gebsrmvn_mxn_16_kernelILj78ELj13ELj6EfEEvi20rocsparse_direction_NS_24const_host_device_scalarIT2_EEPKiS6_PKS3_iiS8_S4_PS3_21rocsparse_index_base_b ; -- Begin function _ZN9rocsparseL22gebsrmvn_mxn_16_kernelILj78ELj13ELj6EfEEvi20rocsparse_direction_NS_24const_host_device_scalarIT2_EEPKiS6_PKS3_iiS8_S4_PS3_21rocsparse_index_base_b
	.p2align	8
	.type	_ZN9rocsparseL22gebsrmvn_mxn_16_kernelILj78ELj13ELj6EfEEvi20rocsparse_direction_NS_24const_host_device_scalarIT2_EEPKiS6_PKS3_iiS8_S4_PS3_21rocsparse_index_base_b,@function
_ZN9rocsparseL22gebsrmvn_mxn_16_kernelILj78ELj13ELj6EfEEvi20rocsparse_direction_NS_24const_host_device_scalarIT2_EEPKiS6_PKS3_iiS8_S4_PS3_21rocsparse_index_base_b: ; @_ZN9rocsparseL22gebsrmvn_mxn_16_kernelILj78ELj13ELj6EfEEvi20rocsparse_direction_NS_24const_host_device_scalarIT2_EEPKiS6_PKS3_iiS8_S4_PS3_21rocsparse_index_base_b
; %bb.0:
	s_clause 0x2
	s_load_b64 s[14:15], s[0:1], 0x48
	s_load_b64 s[8:9], s[0:1], 0x8
	;; [unrolled: 1-line block ×3, first 2 shown]
	s_wait_kmcnt 0x0
	s_bitcmp1_b32 s15, 0
	s_cselect_b32 s4, -1, 0
	s_delay_alu instid0(SALU_CYCLE_1)
	s_and_b32 vcc_lo, exec_lo, s4
	s_xor_b32 s4, s4, -1
	s_cbranch_vccnz .LBB5_2
; %bb.1:
	s_load_b32 s8, s[8:9], 0x0
.LBB5_2:
	s_and_not1_b32 vcc_lo, exec_lo, s4
	s_cbranch_vccnz .LBB5_4
; %bb.3:
	s_load_b32 s2, s[2:3], 0x0
.LBB5_4:
	s_wait_kmcnt 0x0
	s_cmp_eq_f32 s8, 0
	s_cselect_b32 s3, -1, 0
	s_cmp_eq_f32 s2, 1.0
	s_cselect_b32 s4, -1, 0
	s_delay_alu instid0(SALU_CYCLE_1) | instskip(NEXT) | instid1(SALU_CYCLE_1)
	s_and_b32 s3, s3, s4
	s_and_b32 vcc_lo, exec_lo, s3
	s_cbranch_vccnz .LBB5_36
; %bb.5:
	v_mul_u32_u24_e32 v1, 0x2aab, v0
	s_clause 0x1
	s_load_b32 s3, s[0:1], 0x4
	s_load_b64 s[4:5], s[0:1], 0x10
	v_and_b32_e32 v4, 0xffff, v0
	v_lshrrev_b32_e32 v1, 16, v1
	s_delay_alu instid0(VALU_DEP_1) | instskip(NEXT) | instid1(VALU_DEP_1)
	v_mul_lo_u16 v1, v1, 6
	v_sub_nc_u16 v1, v0, v1
	s_delay_alu instid0(VALU_DEP_1) | instskip(SKIP_3) | instid1(SALU_CYCLE_1)
	v_and_b32_e32 v3, 0xffff, v1
	s_wait_kmcnt 0x0
	s_cmp_lg_u32 s3, 1
	s_cselect_b32 s3, -1, 0
	s_and_b32 vcc_lo, exec_lo, s3
	v_mov_b32_e32 v2, v3
	s_cbranch_vccnz .LBB5_7
; %bb.6:
	v_mul_u32_u24_e32 v1, 0x13b2, v4
	s_delay_alu instid0(VALU_DEP_1) | instskip(NEXT) | instid1(VALU_DEP_1)
	v_lshrrev_b32_e32 v1, 16, v1
	v_mul_lo_u16 v2, v1, 43
	s_delay_alu instid0(VALU_DEP_1) | instskip(NEXT) | instid1(VALU_DEP_1)
	v_lshrrev_b16 v2, 8, v2
	v_mul_lo_u16 v2, v2, 6
	s_delay_alu instid0(VALU_DEP_1) | instskip(NEXT) | instid1(VALU_DEP_1)
	v_sub_nc_u16 v1, v1, v2
	v_and_b32_e32 v2, 0xff, v1
.LBB5_7:
	s_bfe_u32 s6, ttmp6, 0x4000c
	s_and_b32 s7, ttmp6, 15
	s_add_co_i32 s6, s6, 1
	s_getreg_b32 s9, hwreg(HW_REG_IB_STS2, 6, 4)
	s_mul_i32 s6, ttmp9, s6
	v_mov_b32_e32 v1, 0
	s_add_co_i32 s7, s7, s6
	s_cmp_eq_u32 s9, 0
	s_cselect_b32 s12, ttmp9, s7
	s_delay_alu instid0(SALU_CYCLE_1) | instskip(NEXT) | instid1(SALU_CYCLE_1)
	s_ashr_i32 s13, s12, 31
	s_lshl_b64 s[6:7], s[12:13], 2
	s_delay_alu instid0(SALU_CYCLE_1)
	s_add_nc_u64 s[4:5], s[4:5], s[6:7]
	s_load_b64 s[18:19], s[4:5], 0x0
	s_load_b64 s[10:11], s[0:1], 0x40
	s_wait_kmcnt 0x0
	s_cmp_ge_i32 s18, s19
	s_cbranch_scc1 .LBB5_12
; %bb.8:
	s_clause 0x1
	s_load_b128 s[4:7], s[0:1], 0x18
	s_load_b64 s[16:17], s[0:1], 0x30
	v_mad_u32 v1, 0x4e, s18, v0
	v_mul_u32_u24_e32 v4, 0x349, v4
	s_wait_xcnt 0x0
	s_mul_i32 s0, s14, 0x4e
	s_sub_co_i32 s1, s18, s14
	s_delay_alu instid0(VALU_DEP_1) | instskip(NEXT) | instid1(VALU_DEP_3)
	v_lshrrev_b32_e32 v4, 16, v4
	v_subrev_nc_u32_e32 v5, s0, v1
	v_mov_b32_e32 v1, 0
	s_sub_co_i32 s0, s19, s14
	s_branch .LBB5_10
.LBB5_9:                                ;   in Loop: Header=BB5_10 Depth=1
	s_or_b32 exec_lo, exec_lo, s9
	v_add_nc_u32_e32 v5, 0x4e, v5
	s_add_co_i32 s1, s1, 1
	s_delay_alu instid0(SALU_CYCLE_1)
	s_cmp_ge_i32 s1, s0
	s_cbranch_scc1 .LBB5_12
.LBB5_10:                               ; =>This Inner Loop Header: Depth=1
	v_add_nc_u32_e32 v6, s1, v4
	s_mov_b32 s9, exec_lo
	s_delay_alu instid0(VALU_DEP_1)
	v_cmpx_gt_i32_e64 s0, v6
	s_cbranch_execz .LBB5_9
; %bb.11:                               ;   in Loop: Header=BB5_10 Depth=1
	s_wait_kmcnt 0x0
	global_load_b32 v6, v6, s[4:5] scale_offset
	s_wait_loadcnt 0x0
	v_subrev_nc_u32_e32 v6, s14, v6
	s_delay_alu instid0(VALU_DEP_1)
	v_mad_u32 v6, v6, 6, v2
	global_load_b32 v7, v5, s[6:7] scale_offset
	global_load_b32 v8, v6, s[16:17] scale_offset
	s_wait_loadcnt 0x0
	v_fmac_f32_e32 v1, v7, v8
	s_branch .LBB5_9
.LBB5_12:
	v_lshlrev_b32_e32 v2, 2, v0
	s_and_b32 vcc_lo, exec_lo, s3
	ds_store_b32 v2, v1
	s_wait_dscnt 0x0
	s_barrier_signal -1
	s_barrier_wait -1
	s_cbranch_vccz .LBB5_22
; %bb.13:
	v_cmp_gt_u16_e32 vcc_lo, 2, v3
	s_and_saveexec_b32 s0, vcc_lo
	s_cbranch_execz .LBB5_15
; %bb.14:
	ds_load_2addr_b32 v[4:5], v2 offset1:4
	s_wait_dscnt 0x0
	v_add_f32_e32 v4, v5, v4
	ds_store_b32 v2, v4
.LBB5_15:
	s_or_b32 exec_lo, exec_lo, s0
	s_wait_dscnt 0x0
	s_barrier_signal -1
	s_barrier_wait -1
	s_and_saveexec_b32 s0, vcc_lo
	s_cbranch_execz .LBB5_17
; %bb.16:
	ds_load_2addr_b32 v[4:5], v2 offset1:2
	s_wait_dscnt 0x0
	v_add_f32_e32 v4, v5, v4
	ds_store_b32 v2, v4
.LBB5_17:
	s_or_b32 exec_lo, exec_lo, s0
	s_delay_alu instid0(SALU_CYCLE_1)
	s_mov_b32 s0, exec_lo
	s_wait_dscnt 0x0
	s_barrier_signal -1
	s_barrier_wait -1
	v_cmpx_eq_u16_e32 0, v3
	s_cbranch_execz .LBB5_19
; %bb.18:
	ds_load_2addr_b32 v[4:5], v2 offset1:1
	s_wait_dscnt 0x0
	v_add_f32_e32 v3, v5, v4
	ds_store_b32 v2, v3
.LBB5_19:
	s_or_b32 exec_lo, exec_lo, s0
	v_mov_b32_e32 v3, v1
	s_mov_b32 s0, exec_lo
	s_wait_dscnt 0x0
	s_barrier_signal -1
	s_barrier_wait -1
	v_cmpx_gt_u32_e32 13, v0
; %bb.20:
	v_mad_u32_u24 v3, v0, 20, v2
	ds_load_b32 v3, v3
; %bb.21:
	s_or_b32 exec_lo, exec_lo, s0
	s_branch .LBB5_32
.LBB5_22:
                                        ; implicit-def: $vgpr3
	s_cbranch_execz .LBB5_32
; %bb.23:
	v_cmp_gt_u32_e32 vcc_lo, 26, v0
	s_and_saveexec_b32 s0, vcc_lo
	s_cbranch_execz .LBB5_25
; %bb.24:
	ds_load_2addr_b32 v[4:5], v2 offset1:52
	s_wait_dscnt 0x0
	v_add_f32_e32 v3, v5, v4
	ds_store_b32 v2, v3
.LBB5_25:
	s_or_b32 exec_lo, exec_lo, s0
	s_wait_dscnt 0x0
	s_barrier_signal -1
	s_barrier_wait -1
	s_and_saveexec_b32 s0, vcc_lo
	s_cbranch_execz .LBB5_27
; %bb.26:
	ds_load_2addr_b32 v[4:5], v2 offset1:26
	s_wait_dscnt 0x0
	v_add_f32_e32 v3, v5, v4
	ds_store_b32 v2, v3
.LBB5_27:
	s_or_b32 exec_lo, exec_lo, s0
	s_delay_alu instid0(SALU_CYCLE_1)
	s_mov_b32 s0, exec_lo
	s_wait_dscnt 0x0
	v_cmpx_lt_u32_e32 12, v0
	s_xor_b32 s0, exec_lo, s0
; %bb.28:
                                        ; implicit-def: $vgpr2
; %bb.29:
	s_delay_alu instid0(SALU_CYCLE_1)
	s_and_not1_saveexec_b32 s0, s0
	s_cbranch_execz .LBB5_31
; %bb.30:
	ds_load_2addr_b32 v[4:5], v2 offset1:13
	s_wait_dscnt 0x0
	v_add_f32_e32 v1, v5, v4
	ds_store_b32 v2, v1
	s_wait_dscnt 0x0
	ds_load_b32 v1, v2
.LBB5_31:
	s_or_b32 exec_lo, exec_lo, s0
	s_wait_dscnt 0x0
	v_mov_b32_e32 v3, v1
.LBB5_32:
	s_mov_b32 s0, exec_lo
	v_cmpx_gt_u32_e32 13, v0
	s_cbranch_execz .LBB5_36
; %bb.33:
	v_mad_u32 v0, s12, 13, v0
	s_wait_dscnt 0x0
	v_mul_f32_e32 v1, s8, v3
	s_cmp_eq_f32 s2, 0
	s_mov_b32 s0, 0
	s_cbranch_scc0 .LBB5_37
; %bb.34:
	global_store_b32 v0, v1, s[10:11] scale_offset
	s_and_not1_b32 vcc_lo, exec_lo, s0
	s_cbranch_vccnz .LBB5_36
.LBB5_35:
	global_load_b32 v2, v0, s[10:11] scale_offset
	s_wait_loadcnt 0x0
	s_wait_xcnt 0x1
	v_fmac_f32_e32 v1, s2, v2
	global_store_b32 v0, v1, s[10:11] scale_offset
.LBB5_36:
	s_endpgm
.LBB5_37:
	s_branch .LBB5_35
	.section	.rodata,"a",@progbits
	.p2align	6, 0x0
	.amdhsa_kernel _ZN9rocsparseL22gebsrmvn_mxn_16_kernelILj78ELj13ELj6EfEEvi20rocsparse_direction_NS_24const_host_device_scalarIT2_EEPKiS6_PKS3_iiS8_S4_PS3_21rocsparse_index_base_b
		.amdhsa_group_segment_fixed_size 312
		.amdhsa_private_segment_fixed_size 0
		.amdhsa_kernarg_size 80
		.amdhsa_user_sgpr_count 2
		.amdhsa_user_sgpr_dispatch_ptr 0
		.amdhsa_user_sgpr_queue_ptr 0
		.amdhsa_user_sgpr_kernarg_segment_ptr 1
		.amdhsa_user_sgpr_dispatch_id 0
		.amdhsa_user_sgpr_kernarg_preload_length 0
		.amdhsa_user_sgpr_kernarg_preload_offset 0
		.amdhsa_user_sgpr_private_segment_size 0
		.amdhsa_wavefront_size32 1
		.amdhsa_uses_dynamic_stack 0
		.amdhsa_enable_private_segment 0
		.amdhsa_system_sgpr_workgroup_id_x 1
		.amdhsa_system_sgpr_workgroup_id_y 0
		.amdhsa_system_sgpr_workgroup_id_z 0
		.amdhsa_system_sgpr_workgroup_info 0
		.amdhsa_system_vgpr_workitem_id 0
		.amdhsa_next_free_vgpr 9
		.amdhsa_next_free_sgpr 20
		.amdhsa_named_barrier_count 0
		.amdhsa_reserve_vcc 1
		.amdhsa_float_round_mode_32 0
		.amdhsa_float_round_mode_16_64 0
		.amdhsa_float_denorm_mode_32 3
		.amdhsa_float_denorm_mode_16_64 3
		.amdhsa_fp16_overflow 0
		.amdhsa_memory_ordered 1
		.amdhsa_forward_progress 1
		.amdhsa_inst_pref_size 9
		.amdhsa_round_robin_scheduling 0
		.amdhsa_exception_fp_ieee_invalid_op 0
		.amdhsa_exception_fp_denorm_src 0
		.amdhsa_exception_fp_ieee_div_zero 0
		.amdhsa_exception_fp_ieee_overflow 0
		.amdhsa_exception_fp_ieee_underflow 0
		.amdhsa_exception_fp_ieee_inexact 0
		.amdhsa_exception_int_div_zero 0
	.end_amdhsa_kernel
	.section	.text._ZN9rocsparseL22gebsrmvn_mxn_16_kernelILj78ELj13ELj6EfEEvi20rocsparse_direction_NS_24const_host_device_scalarIT2_EEPKiS6_PKS3_iiS8_S4_PS3_21rocsparse_index_base_b,"axG",@progbits,_ZN9rocsparseL22gebsrmvn_mxn_16_kernelILj78ELj13ELj6EfEEvi20rocsparse_direction_NS_24const_host_device_scalarIT2_EEPKiS6_PKS3_iiS8_S4_PS3_21rocsparse_index_base_b,comdat
.Lfunc_end5:
	.size	_ZN9rocsparseL22gebsrmvn_mxn_16_kernelILj78ELj13ELj6EfEEvi20rocsparse_direction_NS_24const_host_device_scalarIT2_EEPKiS6_PKS3_iiS8_S4_PS3_21rocsparse_index_base_b, .Lfunc_end5-_ZN9rocsparseL22gebsrmvn_mxn_16_kernelILj78ELj13ELj6EfEEvi20rocsparse_direction_NS_24const_host_device_scalarIT2_EEPKiS6_PKS3_iiS8_S4_PS3_21rocsparse_index_base_b
                                        ; -- End function
	.set _ZN9rocsparseL22gebsrmvn_mxn_16_kernelILj78ELj13ELj6EfEEvi20rocsparse_direction_NS_24const_host_device_scalarIT2_EEPKiS6_PKS3_iiS8_S4_PS3_21rocsparse_index_base_b.num_vgpr, 9
	.set _ZN9rocsparseL22gebsrmvn_mxn_16_kernelILj78ELj13ELj6EfEEvi20rocsparse_direction_NS_24const_host_device_scalarIT2_EEPKiS6_PKS3_iiS8_S4_PS3_21rocsparse_index_base_b.num_agpr, 0
	.set _ZN9rocsparseL22gebsrmvn_mxn_16_kernelILj78ELj13ELj6EfEEvi20rocsparse_direction_NS_24const_host_device_scalarIT2_EEPKiS6_PKS3_iiS8_S4_PS3_21rocsparse_index_base_b.numbered_sgpr, 20
	.set _ZN9rocsparseL22gebsrmvn_mxn_16_kernelILj78ELj13ELj6EfEEvi20rocsparse_direction_NS_24const_host_device_scalarIT2_EEPKiS6_PKS3_iiS8_S4_PS3_21rocsparse_index_base_b.num_named_barrier, 0
	.set _ZN9rocsparseL22gebsrmvn_mxn_16_kernelILj78ELj13ELj6EfEEvi20rocsparse_direction_NS_24const_host_device_scalarIT2_EEPKiS6_PKS3_iiS8_S4_PS3_21rocsparse_index_base_b.private_seg_size, 0
	.set _ZN9rocsparseL22gebsrmvn_mxn_16_kernelILj78ELj13ELj6EfEEvi20rocsparse_direction_NS_24const_host_device_scalarIT2_EEPKiS6_PKS3_iiS8_S4_PS3_21rocsparse_index_base_b.uses_vcc, 1
	.set _ZN9rocsparseL22gebsrmvn_mxn_16_kernelILj78ELj13ELj6EfEEvi20rocsparse_direction_NS_24const_host_device_scalarIT2_EEPKiS6_PKS3_iiS8_S4_PS3_21rocsparse_index_base_b.uses_flat_scratch, 0
	.set _ZN9rocsparseL22gebsrmvn_mxn_16_kernelILj78ELj13ELj6EfEEvi20rocsparse_direction_NS_24const_host_device_scalarIT2_EEPKiS6_PKS3_iiS8_S4_PS3_21rocsparse_index_base_b.has_dyn_sized_stack, 0
	.set _ZN9rocsparseL22gebsrmvn_mxn_16_kernelILj78ELj13ELj6EfEEvi20rocsparse_direction_NS_24const_host_device_scalarIT2_EEPKiS6_PKS3_iiS8_S4_PS3_21rocsparse_index_base_b.has_recursion, 0
	.set _ZN9rocsparseL22gebsrmvn_mxn_16_kernelILj78ELj13ELj6EfEEvi20rocsparse_direction_NS_24const_host_device_scalarIT2_EEPKiS6_PKS3_iiS8_S4_PS3_21rocsparse_index_base_b.has_indirect_call, 0
	.section	.AMDGPU.csdata,"",@progbits
; Kernel info:
; codeLenInByte = 1068
; TotalNumSgprs: 22
; NumVgprs: 9
; ScratchSize: 0
; MemoryBound: 0
; FloatMode: 240
; IeeeMode: 1
; LDSByteSize: 312 bytes/workgroup (compile time only)
; SGPRBlocks: 0
; VGPRBlocks: 0
; NumSGPRsForWavesPerEU: 22
; NumVGPRsForWavesPerEU: 9
; NamedBarCnt: 0
; Occupancy: 16
; WaveLimiterHint : 1
; COMPUTE_PGM_RSRC2:SCRATCH_EN: 0
; COMPUTE_PGM_RSRC2:USER_SGPR: 2
; COMPUTE_PGM_RSRC2:TRAP_HANDLER: 0
; COMPUTE_PGM_RSRC2:TGID_X_EN: 1
; COMPUTE_PGM_RSRC2:TGID_Y_EN: 0
; COMPUTE_PGM_RSRC2:TGID_Z_EN: 0
; COMPUTE_PGM_RSRC2:TIDIG_COMP_CNT: 0
	.section	.text._ZN9rocsparseL22gebsrmvn_mxn_16_kernelILj91ELj13ELj7EfEEvi20rocsparse_direction_NS_24const_host_device_scalarIT2_EEPKiS6_PKS3_iiS8_S4_PS3_21rocsparse_index_base_b,"axG",@progbits,_ZN9rocsparseL22gebsrmvn_mxn_16_kernelILj91ELj13ELj7EfEEvi20rocsparse_direction_NS_24const_host_device_scalarIT2_EEPKiS6_PKS3_iiS8_S4_PS3_21rocsparse_index_base_b,comdat
	.globl	_ZN9rocsparseL22gebsrmvn_mxn_16_kernelILj91ELj13ELj7EfEEvi20rocsparse_direction_NS_24const_host_device_scalarIT2_EEPKiS6_PKS3_iiS8_S4_PS3_21rocsparse_index_base_b ; -- Begin function _ZN9rocsparseL22gebsrmvn_mxn_16_kernelILj91ELj13ELj7EfEEvi20rocsparse_direction_NS_24const_host_device_scalarIT2_EEPKiS6_PKS3_iiS8_S4_PS3_21rocsparse_index_base_b
	.p2align	8
	.type	_ZN9rocsparseL22gebsrmvn_mxn_16_kernelILj91ELj13ELj7EfEEvi20rocsparse_direction_NS_24const_host_device_scalarIT2_EEPKiS6_PKS3_iiS8_S4_PS3_21rocsparse_index_base_b,@function
_ZN9rocsparseL22gebsrmvn_mxn_16_kernelILj91ELj13ELj7EfEEvi20rocsparse_direction_NS_24const_host_device_scalarIT2_EEPKiS6_PKS3_iiS8_S4_PS3_21rocsparse_index_base_b: ; @_ZN9rocsparseL22gebsrmvn_mxn_16_kernelILj91ELj13ELj7EfEEvi20rocsparse_direction_NS_24const_host_device_scalarIT2_EEPKiS6_PKS3_iiS8_S4_PS3_21rocsparse_index_base_b
; %bb.0:
	s_clause 0x2
	s_load_b64 s[14:15], s[0:1], 0x48
	s_load_b64 s[8:9], s[0:1], 0x8
	;; [unrolled: 1-line block ×3, first 2 shown]
	s_wait_kmcnt 0x0
	s_bitcmp1_b32 s15, 0
	s_cselect_b32 s4, -1, 0
	s_delay_alu instid0(SALU_CYCLE_1)
	s_and_b32 vcc_lo, exec_lo, s4
	s_xor_b32 s4, s4, -1
	s_cbranch_vccnz .LBB6_2
; %bb.1:
	s_load_b32 s8, s[8:9], 0x0
.LBB6_2:
	s_and_not1_b32 vcc_lo, exec_lo, s4
	s_cbranch_vccnz .LBB6_4
; %bb.3:
	s_load_b32 s2, s[2:3], 0x0
.LBB6_4:
	s_wait_kmcnt 0x0
	s_cmp_eq_f32 s8, 0
	s_cselect_b32 s3, -1, 0
	s_cmp_eq_f32 s2, 1.0
	s_cselect_b32 s4, -1, 0
	s_delay_alu instid0(SALU_CYCLE_1) | instskip(NEXT) | instid1(SALU_CYCLE_1)
	s_and_b32 s3, s3, s4
	s_and_b32 vcc_lo, exec_lo, s3
	s_cbranch_vccnz .LBB6_36
; %bb.5:
	v_mul_u32_u24_e32 v1, 0x2493, v0
	s_clause 0x1
	s_load_b32 s3, s[0:1], 0x4
	s_load_b64 s[4:5], s[0:1], 0x10
	v_and_b32_e32 v4, 0xffff, v0
	v_lshrrev_b32_e32 v1, 16, v1
	s_delay_alu instid0(VALU_DEP_1) | instskip(NEXT) | instid1(VALU_DEP_1)
	v_mul_lo_u16 v1, v1, 7
	v_sub_nc_u16 v1, v0, v1
	s_delay_alu instid0(VALU_DEP_1) | instskip(SKIP_3) | instid1(SALU_CYCLE_1)
	v_and_b32_e32 v3, 0xffff, v1
	s_wait_kmcnt 0x0
	s_cmp_lg_u32 s3, 1
	s_cselect_b32 s3, -1, 0
	s_and_b32 vcc_lo, exec_lo, s3
	v_mov_b32_e32 v2, v3
	s_cbranch_vccnz .LBB6_7
; %bb.6:
	v_mul_u32_u24_e32 v1, 0x13b2, v4
	s_delay_alu instid0(VALU_DEP_1) | instskip(NEXT) | instid1(VALU_DEP_1)
	v_lshrrev_b32_e32 v1, 16, v1
	v_mul_lo_u16 v2, v1, 37
	s_delay_alu instid0(VALU_DEP_1) | instskip(NEXT) | instid1(VALU_DEP_1)
	v_lshrrev_b16 v2, 8, v2
	v_mul_lo_u16 v2, v2, 7
	s_delay_alu instid0(VALU_DEP_1) | instskip(NEXT) | instid1(VALU_DEP_1)
	v_sub_nc_u16 v1, v1, v2
	v_and_b32_e32 v2, 0xff, v1
.LBB6_7:
	s_bfe_u32 s6, ttmp6, 0x4000c
	s_and_b32 s7, ttmp6, 15
	s_add_co_i32 s6, s6, 1
	s_getreg_b32 s9, hwreg(HW_REG_IB_STS2, 6, 4)
	s_mul_i32 s6, ttmp9, s6
	v_mov_b32_e32 v1, 0
	s_add_co_i32 s7, s7, s6
	s_cmp_eq_u32 s9, 0
	s_cselect_b32 s12, ttmp9, s7
	s_delay_alu instid0(SALU_CYCLE_1) | instskip(NEXT) | instid1(SALU_CYCLE_1)
	s_ashr_i32 s13, s12, 31
	s_lshl_b64 s[6:7], s[12:13], 2
	s_delay_alu instid0(SALU_CYCLE_1)
	s_add_nc_u64 s[4:5], s[4:5], s[6:7]
	s_load_b64 s[18:19], s[4:5], 0x0
	s_load_b64 s[10:11], s[0:1], 0x40
	s_wait_kmcnt 0x0
	s_cmp_ge_i32 s18, s19
	s_cbranch_scc1 .LBB6_12
; %bb.8:
	s_clause 0x1
	s_load_b128 s[4:7], s[0:1], 0x18
	s_load_b64 s[16:17], s[0:1], 0x30
	v_mad_u32 v1, 0x5b, s18, v0
	v_mul_u32_u24_e32 v4, 0x2d1, v4
	s_wait_xcnt 0x0
	s_mul_i32 s0, s14, 0x5b
	s_sub_co_i32 s1, s18, s14
	s_delay_alu instid0(VALU_DEP_1) | instskip(NEXT) | instid1(VALU_DEP_3)
	v_lshrrev_b32_e32 v4, 16, v4
	v_subrev_nc_u32_e32 v5, s0, v1
	v_mov_b32_e32 v1, 0
	s_sub_co_i32 s0, s19, s14
	s_branch .LBB6_10
.LBB6_9:                                ;   in Loop: Header=BB6_10 Depth=1
	s_or_b32 exec_lo, exec_lo, s9
	v_add_nc_u32_e32 v5, 0x5b, v5
	s_add_co_i32 s1, s1, 1
	s_delay_alu instid0(SALU_CYCLE_1)
	s_cmp_ge_i32 s1, s0
	s_cbranch_scc1 .LBB6_12
.LBB6_10:                               ; =>This Inner Loop Header: Depth=1
	v_add_nc_u32_e32 v6, s1, v4
	s_mov_b32 s9, exec_lo
	s_delay_alu instid0(VALU_DEP_1)
	v_cmpx_gt_i32_e64 s0, v6
	s_cbranch_execz .LBB6_9
; %bb.11:                               ;   in Loop: Header=BB6_10 Depth=1
	s_wait_kmcnt 0x0
	global_load_b32 v6, v6, s[4:5] scale_offset
	s_wait_loadcnt 0x0
	v_subrev_nc_u32_e32 v6, s14, v6
	s_delay_alu instid0(VALU_DEP_1)
	v_mad_u32 v6, v6, 7, v2
	global_load_b32 v7, v5, s[6:7] scale_offset
	global_load_b32 v8, v6, s[16:17] scale_offset
	s_wait_loadcnt 0x0
	v_fmac_f32_e32 v1, v7, v8
	s_branch .LBB6_9
.LBB6_12:
	v_lshlrev_b32_e32 v2, 2, v0
	s_and_b32 vcc_lo, exec_lo, s3
	ds_store_b32 v2, v1
	s_wait_dscnt 0x0
	s_barrier_signal -1
	s_barrier_wait -1
	s_cbranch_vccz .LBB6_22
; %bb.13:
	s_mov_b32 s0, exec_lo
	v_cmpx_gt_u16_e32 3, v3
	s_cbranch_execz .LBB6_15
; %bb.14:
	ds_load_2addr_b32 v[4:5], v2 offset1:4
	s_wait_dscnt 0x0
	v_add_f32_e32 v4, v5, v4
	ds_store_b32 v2, v4
.LBB6_15:
	s_or_b32 exec_lo, exec_lo, s0
	s_delay_alu instid0(SALU_CYCLE_1)
	s_mov_b32 s0, exec_lo
	s_wait_dscnt 0x0
	s_barrier_signal -1
	s_barrier_wait -1
	v_cmpx_gt_u16_e32 2, v3
	s_cbranch_execz .LBB6_17
; %bb.16:
	ds_load_2addr_b32 v[4:5], v2 offset1:2
	s_wait_dscnt 0x0
	v_add_f32_e32 v4, v5, v4
	ds_store_b32 v2, v4
.LBB6_17:
	s_or_b32 exec_lo, exec_lo, s0
	s_delay_alu instid0(SALU_CYCLE_1)
	s_mov_b32 s0, exec_lo
	s_wait_dscnt 0x0
	s_barrier_signal -1
	s_barrier_wait -1
	v_cmpx_eq_u16_e32 0, v3
	s_cbranch_execz .LBB6_19
; %bb.18:
	ds_load_2addr_b32 v[4:5], v2 offset1:1
	s_wait_dscnt 0x0
	v_add_f32_e32 v3, v5, v4
	ds_store_b32 v2, v3
.LBB6_19:
	s_or_b32 exec_lo, exec_lo, s0
	v_mov_b32_e32 v3, v1
	s_mov_b32 s0, exec_lo
	s_wait_dscnt 0x0
	s_barrier_signal -1
	s_barrier_wait -1
	v_cmpx_gt_u32_e32 13, v0
; %bb.20:
	v_mad_u32_u24 v3, v0, 24, v2
	ds_load_b32 v3, v3
; %bb.21:
	s_or_b32 exec_lo, exec_lo, s0
	s_branch .LBB6_32
.LBB6_22:
                                        ; implicit-def: $vgpr3
	s_cbranch_execz .LBB6_32
; %bb.23:
	s_mov_b32 s0, exec_lo
	v_cmpx_gt_u32_e32 39, v0
	s_cbranch_execz .LBB6_25
; %bb.24:
	ds_load_2addr_b32 v[4:5], v2 offset1:52
	s_wait_dscnt 0x0
	v_add_f32_e32 v3, v5, v4
	ds_store_b32 v2, v3
.LBB6_25:
	s_or_b32 exec_lo, exec_lo, s0
	s_delay_alu instid0(SALU_CYCLE_1)
	s_mov_b32 s0, exec_lo
	s_wait_dscnt 0x0
	s_barrier_signal -1
	s_barrier_wait -1
	v_cmpx_gt_u32_e32 26, v0
	s_cbranch_execz .LBB6_27
; %bb.26:
	ds_load_2addr_b32 v[4:5], v2 offset1:26
	s_wait_dscnt 0x0
	v_add_f32_e32 v3, v5, v4
	ds_store_b32 v2, v3
.LBB6_27:
	s_or_b32 exec_lo, exec_lo, s0
	s_delay_alu instid0(SALU_CYCLE_1)
	s_mov_b32 s0, exec_lo
	s_wait_dscnt 0x0
	v_cmpx_lt_u32_e32 12, v0
	s_xor_b32 s0, exec_lo, s0
; %bb.28:
                                        ; implicit-def: $vgpr2
; %bb.29:
	s_delay_alu instid0(SALU_CYCLE_1)
	s_and_not1_saveexec_b32 s0, s0
	s_cbranch_execz .LBB6_31
; %bb.30:
	ds_load_2addr_b32 v[4:5], v2 offset1:13
	s_wait_dscnt 0x0
	v_add_f32_e32 v1, v5, v4
	ds_store_b32 v2, v1
	s_wait_dscnt 0x0
	ds_load_b32 v1, v2
.LBB6_31:
	s_or_b32 exec_lo, exec_lo, s0
	s_wait_dscnt 0x0
	v_mov_b32_e32 v3, v1
.LBB6_32:
	s_mov_b32 s0, exec_lo
	v_cmpx_gt_u32_e32 13, v0
	s_cbranch_execz .LBB6_36
; %bb.33:
	v_mad_u32 v0, s12, 13, v0
	s_wait_dscnt 0x0
	v_mul_f32_e32 v1, s8, v3
	s_cmp_eq_f32 s2, 0
	s_mov_b32 s0, 0
	s_cbranch_scc0 .LBB6_37
; %bb.34:
	global_store_b32 v0, v1, s[10:11] scale_offset
	s_and_not1_b32 vcc_lo, exec_lo, s0
	s_cbranch_vccnz .LBB6_36
.LBB6_35:
	global_load_b32 v2, v0, s[10:11] scale_offset
	s_wait_loadcnt 0x0
	s_wait_xcnt 0x1
	v_fmac_f32_e32 v1, s2, v2
	global_store_b32 v0, v1, s[10:11] scale_offset
.LBB6_36:
	s_endpgm
.LBB6_37:
	s_branch .LBB6_35
	.section	.rodata,"a",@progbits
	.p2align	6, 0x0
	.amdhsa_kernel _ZN9rocsparseL22gebsrmvn_mxn_16_kernelILj91ELj13ELj7EfEEvi20rocsparse_direction_NS_24const_host_device_scalarIT2_EEPKiS6_PKS3_iiS8_S4_PS3_21rocsparse_index_base_b
		.amdhsa_group_segment_fixed_size 364
		.amdhsa_private_segment_fixed_size 0
		.amdhsa_kernarg_size 80
		.amdhsa_user_sgpr_count 2
		.amdhsa_user_sgpr_dispatch_ptr 0
		.amdhsa_user_sgpr_queue_ptr 0
		.amdhsa_user_sgpr_kernarg_segment_ptr 1
		.amdhsa_user_sgpr_dispatch_id 0
		.amdhsa_user_sgpr_kernarg_preload_length 0
		.amdhsa_user_sgpr_kernarg_preload_offset 0
		.amdhsa_user_sgpr_private_segment_size 0
		.amdhsa_wavefront_size32 1
		.amdhsa_uses_dynamic_stack 0
		.amdhsa_enable_private_segment 0
		.amdhsa_system_sgpr_workgroup_id_x 1
		.amdhsa_system_sgpr_workgroup_id_y 0
		.amdhsa_system_sgpr_workgroup_id_z 0
		.amdhsa_system_sgpr_workgroup_info 0
		.amdhsa_system_vgpr_workitem_id 0
		.amdhsa_next_free_vgpr 9
		.amdhsa_next_free_sgpr 20
		.amdhsa_named_barrier_count 0
		.amdhsa_reserve_vcc 1
		.amdhsa_float_round_mode_32 0
		.amdhsa_float_round_mode_16_64 0
		.amdhsa_float_denorm_mode_32 3
		.amdhsa_float_denorm_mode_16_64 3
		.amdhsa_fp16_overflow 0
		.amdhsa_memory_ordered 1
		.amdhsa_forward_progress 1
		.amdhsa_inst_pref_size 9
		.amdhsa_round_robin_scheduling 0
		.amdhsa_exception_fp_ieee_invalid_op 0
		.amdhsa_exception_fp_denorm_src 0
		.amdhsa_exception_fp_ieee_div_zero 0
		.amdhsa_exception_fp_ieee_overflow 0
		.amdhsa_exception_fp_ieee_underflow 0
		.amdhsa_exception_fp_ieee_inexact 0
		.amdhsa_exception_int_div_zero 0
	.end_amdhsa_kernel
	.section	.text._ZN9rocsparseL22gebsrmvn_mxn_16_kernelILj91ELj13ELj7EfEEvi20rocsparse_direction_NS_24const_host_device_scalarIT2_EEPKiS6_PKS3_iiS8_S4_PS3_21rocsparse_index_base_b,"axG",@progbits,_ZN9rocsparseL22gebsrmvn_mxn_16_kernelILj91ELj13ELj7EfEEvi20rocsparse_direction_NS_24const_host_device_scalarIT2_EEPKiS6_PKS3_iiS8_S4_PS3_21rocsparse_index_base_b,comdat
.Lfunc_end6:
	.size	_ZN9rocsparseL22gebsrmvn_mxn_16_kernelILj91ELj13ELj7EfEEvi20rocsparse_direction_NS_24const_host_device_scalarIT2_EEPKiS6_PKS3_iiS8_S4_PS3_21rocsparse_index_base_b, .Lfunc_end6-_ZN9rocsparseL22gebsrmvn_mxn_16_kernelILj91ELj13ELj7EfEEvi20rocsparse_direction_NS_24const_host_device_scalarIT2_EEPKiS6_PKS3_iiS8_S4_PS3_21rocsparse_index_base_b
                                        ; -- End function
	.set _ZN9rocsparseL22gebsrmvn_mxn_16_kernelILj91ELj13ELj7EfEEvi20rocsparse_direction_NS_24const_host_device_scalarIT2_EEPKiS6_PKS3_iiS8_S4_PS3_21rocsparse_index_base_b.num_vgpr, 9
	.set _ZN9rocsparseL22gebsrmvn_mxn_16_kernelILj91ELj13ELj7EfEEvi20rocsparse_direction_NS_24const_host_device_scalarIT2_EEPKiS6_PKS3_iiS8_S4_PS3_21rocsparse_index_base_b.num_agpr, 0
	.set _ZN9rocsparseL22gebsrmvn_mxn_16_kernelILj91ELj13ELj7EfEEvi20rocsparse_direction_NS_24const_host_device_scalarIT2_EEPKiS6_PKS3_iiS8_S4_PS3_21rocsparse_index_base_b.numbered_sgpr, 20
	.set _ZN9rocsparseL22gebsrmvn_mxn_16_kernelILj91ELj13ELj7EfEEvi20rocsparse_direction_NS_24const_host_device_scalarIT2_EEPKiS6_PKS3_iiS8_S4_PS3_21rocsparse_index_base_b.num_named_barrier, 0
	.set _ZN9rocsparseL22gebsrmvn_mxn_16_kernelILj91ELj13ELj7EfEEvi20rocsparse_direction_NS_24const_host_device_scalarIT2_EEPKiS6_PKS3_iiS8_S4_PS3_21rocsparse_index_base_b.private_seg_size, 0
	.set _ZN9rocsparseL22gebsrmvn_mxn_16_kernelILj91ELj13ELj7EfEEvi20rocsparse_direction_NS_24const_host_device_scalarIT2_EEPKiS6_PKS3_iiS8_S4_PS3_21rocsparse_index_base_b.uses_vcc, 1
	.set _ZN9rocsparseL22gebsrmvn_mxn_16_kernelILj91ELj13ELj7EfEEvi20rocsparse_direction_NS_24const_host_device_scalarIT2_EEPKiS6_PKS3_iiS8_S4_PS3_21rocsparse_index_base_b.uses_flat_scratch, 0
	.set _ZN9rocsparseL22gebsrmvn_mxn_16_kernelILj91ELj13ELj7EfEEvi20rocsparse_direction_NS_24const_host_device_scalarIT2_EEPKiS6_PKS3_iiS8_S4_PS3_21rocsparse_index_base_b.has_dyn_sized_stack, 0
	.set _ZN9rocsparseL22gebsrmvn_mxn_16_kernelILj91ELj13ELj7EfEEvi20rocsparse_direction_NS_24const_host_device_scalarIT2_EEPKiS6_PKS3_iiS8_S4_PS3_21rocsparse_index_base_b.has_recursion, 0
	.set _ZN9rocsparseL22gebsrmvn_mxn_16_kernelILj91ELj13ELj7EfEEvi20rocsparse_direction_NS_24const_host_device_scalarIT2_EEPKiS6_PKS3_iiS8_S4_PS3_21rocsparse_index_base_b.has_indirect_call, 0
	.section	.AMDGPU.csdata,"",@progbits
; Kernel info:
; codeLenInByte = 1084
; TotalNumSgprs: 22
; NumVgprs: 9
; ScratchSize: 0
; MemoryBound: 0
; FloatMode: 240
; IeeeMode: 1
; LDSByteSize: 364 bytes/workgroup (compile time only)
; SGPRBlocks: 0
; VGPRBlocks: 0
; NumSGPRsForWavesPerEU: 22
; NumVGPRsForWavesPerEU: 9
; NamedBarCnt: 0
; Occupancy: 16
; WaveLimiterHint : 1
; COMPUTE_PGM_RSRC2:SCRATCH_EN: 0
; COMPUTE_PGM_RSRC2:USER_SGPR: 2
; COMPUTE_PGM_RSRC2:TRAP_HANDLER: 0
; COMPUTE_PGM_RSRC2:TGID_X_EN: 1
; COMPUTE_PGM_RSRC2:TGID_Y_EN: 0
; COMPUTE_PGM_RSRC2:TGID_Z_EN: 0
; COMPUTE_PGM_RSRC2:TIDIG_COMP_CNT: 0
	.section	.text._ZN9rocsparseL22gebsrmvn_mxn_16_kernelILj104ELj13ELj8EfEEvi20rocsparse_direction_NS_24const_host_device_scalarIT2_EEPKiS6_PKS3_iiS8_S4_PS3_21rocsparse_index_base_b,"axG",@progbits,_ZN9rocsparseL22gebsrmvn_mxn_16_kernelILj104ELj13ELj8EfEEvi20rocsparse_direction_NS_24const_host_device_scalarIT2_EEPKiS6_PKS3_iiS8_S4_PS3_21rocsparse_index_base_b,comdat
	.globl	_ZN9rocsparseL22gebsrmvn_mxn_16_kernelILj104ELj13ELj8EfEEvi20rocsparse_direction_NS_24const_host_device_scalarIT2_EEPKiS6_PKS3_iiS8_S4_PS3_21rocsparse_index_base_b ; -- Begin function _ZN9rocsparseL22gebsrmvn_mxn_16_kernelILj104ELj13ELj8EfEEvi20rocsparse_direction_NS_24const_host_device_scalarIT2_EEPKiS6_PKS3_iiS8_S4_PS3_21rocsparse_index_base_b
	.p2align	8
	.type	_ZN9rocsparseL22gebsrmvn_mxn_16_kernelILj104ELj13ELj8EfEEvi20rocsparse_direction_NS_24const_host_device_scalarIT2_EEPKiS6_PKS3_iiS8_S4_PS3_21rocsparse_index_base_b,@function
_ZN9rocsparseL22gebsrmvn_mxn_16_kernelILj104ELj13ELj8EfEEvi20rocsparse_direction_NS_24const_host_device_scalarIT2_EEPKiS6_PKS3_iiS8_S4_PS3_21rocsparse_index_base_b: ; @_ZN9rocsparseL22gebsrmvn_mxn_16_kernelILj104ELj13ELj8EfEEvi20rocsparse_direction_NS_24const_host_device_scalarIT2_EEPKiS6_PKS3_iiS8_S4_PS3_21rocsparse_index_base_b
; %bb.0:
	s_clause 0x2
	s_load_b64 s[14:15], s[0:1], 0x48
	s_load_b64 s[8:9], s[0:1], 0x8
	;; [unrolled: 1-line block ×3, first 2 shown]
	s_wait_kmcnt 0x0
	s_bitcmp1_b32 s15, 0
	s_cselect_b32 s4, -1, 0
	s_delay_alu instid0(SALU_CYCLE_1)
	s_and_b32 vcc_lo, exec_lo, s4
	s_xor_b32 s4, s4, -1
	s_cbranch_vccnz .LBB7_2
; %bb.1:
	s_load_b32 s8, s[8:9], 0x0
.LBB7_2:
	s_and_not1_b32 vcc_lo, exec_lo, s4
	s_cbranch_vccnz .LBB7_4
; %bb.3:
	s_load_b32 s2, s[2:3], 0x0
.LBB7_4:
	s_wait_kmcnt 0x0
	s_cmp_eq_f32 s8, 0
	s_cselect_b32 s3, -1, 0
	s_cmp_eq_f32 s2, 1.0
	s_cselect_b32 s4, -1, 0
	s_delay_alu instid0(SALU_CYCLE_1) | instskip(NEXT) | instid1(SALU_CYCLE_1)
	s_and_b32 s3, s3, s4
	s_and_b32 vcc_lo, exec_lo, s3
	s_cbranch_vccnz .LBB7_36
; %bb.5:
	s_clause 0x1
	s_load_b32 s3, s[0:1], 0x4
	s_load_b64 s[4:5], s[0:1], 0x10
	v_and_b32_e32 v3, 7, v0
	s_delay_alu instid0(VALU_DEP_1) | instskip(SKIP_3) | instid1(SALU_CYCLE_1)
	v_mov_b32_e32 v2, v3
	s_wait_kmcnt 0x0
	s_cmp_lg_u32 s3, 1
	s_cselect_b32 s3, -1, 0
	s_and_b32 vcc_lo, exec_lo, s3
	s_cbranch_vccnz .LBB7_7
; %bb.6:
	v_mul_u32_u24_e32 v1, 0x13b2, v0
	s_delay_alu instid0(VALU_DEP_1)
	v_bfe_u32 v2, v1, 16, 3
.LBB7_7:
	s_bfe_u32 s6, ttmp6, 0x4000c
	s_and_b32 s7, ttmp6, 15
	s_add_co_i32 s6, s6, 1
	s_getreg_b32 s9, hwreg(HW_REG_IB_STS2, 6, 4)
	s_mul_i32 s6, ttmp9, s6
	v_mov_b32_e32 v1, 0
	s_add_co_i32 s7, s7, s6
	s_cmp_eq_u32 s9, 0
	s_cselect_b32 s12, ttmp9, s7
	s_delay_alu instid0(SALU_CYCLE_1) | instskip(NEXT) | instid1(SALU_CYCLE_1)
	s_ashr_i32 s13, s12, 31
	s_lshl_b64 s[6:7], s[12:13], 2
	s_delay_alu instid0(SALU_CYCLE_1)
	s_add_nc_u64 s[4:5], s[4:5], s[6:7]
	s_load_b64 s[18:19], s[4:5], 0x0
	s_load_b64 s[10:11], s[0:1], 0x40
	s_wait_kmcnt 0x0
	s_cmp_ge_i32 s18, s19
	s_cbranch_scc1 .LBB7_12
; %bb.8:
	s_clause 0x1
	s_load_b128 s[4:7], s[0:1], 0x18
	s_load_b64 s[16:17], s[0:1], 0x30
	v_mad_u32 v1, 0x68, s18, v0
	v_mul_u32_u24_e32 v4, 0x277, v0
	s_wait_xcnt 0x0
	s_mul_i32 s0, s14, 0x68
	s_sub_co_i32 s1, s18, s14
	s_delay_alu instid0(VALU_DEP_1) | instskip(NEXT) | instid1(VALU_DEP_3)
	v_lshrrev_b32_e32 v4, 16, v4
	v_subrev_nc_u32_e32 v5, s0, v1
	v_mov_b32_e32 v1, 0
	s_sub_co_i32 s0, s19, s14
	s_branch .LBB7_10
.LBB7_9:                                ;   in Loop: Header=BB7_10 Depth=1
	s_or_b32 exec_lo, exec_lo, s9
	v_add_nc_u32_e32 v5, 0x68, v5
	s_add_co_i32 s1, s1, 1
	s_delay_alu instid0(SALU_CYCLE_1)
	s_cmp_ge_i32 s1, s0
	s_cbranch_scc1 .LBB7_12
.LBB7_10:                               ; =>This Inner Loop Header: Depth=1
	v_add_nc_u32_e32 v6, s1, v4
	s_mov_b32 s9, exec_lo
	s_delay_alu instid0(VALU_DEP_1)
	v_cmpx_gt_i32_e64 s0, v6
	s_cbranch_execz .LBB7_9
; %bb.11:                               ;   in Loop: Header=BB7_10 Depth=1
	s_wait_kmcnt 0x0
	global_load_b32 v6, v6, s[4:5] scale_offset
	s_wait_loadcnt 0x0
	v_subrev_nc_u32_e32 v6, s14, v6
	s_delay_alu instid0(VALU_DEP_1)
	v_lshl_or_b32 v6, v6, 3, v2
	global_load_b32 v7, v5, s[6:7] scale_offset
	global_load_b32 v8, v6, s[16:17] scale_offset
	s_wait_loadcnt 0x0
	v_fmac_f32_e32 v1, v7, v8
	s_branch .LBB7_9
.LBB7_12:
	v_lshlrev_b32_e32 v2, 2, v0
	s_and_b32 vcc_lo, exec_lo, s3
	ds_store_b32 v2, v1
	s_wait_dscnt 0x0
	s_barrier_signal -1
	s_barrier_wait -1
	s_cbranch_vccz .LBB7_22
; %bb.13:
	s_mov_b32 s0, exec_lo
	v_cmpx_gt_u32_e32 4, v3
	s_cbranch_execz .LBB7_15
; %bb.14:
	ds_load_2addr_b32 v[4:5], v2 offset1:4
	s_wait_dscnt 0x0
	v_add_f32_e32 v4, v5, v4
	ds_store_b32 v2, v4
.LBB7_15:
	s_or_b32 exec_lo, exec_lo, s0
	s_delay_alu instid0(SALU_CYCLE_1)
	s_mov_b32 s0, exec_lo
	s_wait_dscnt 0x0
	s_barrier_signal -1
	s_barrier_wait -1
	v_cmpx_gt_u32_e32 2, v3
	s_cbranch_execz .LBB7_17
; %bb.16:
	ds_load_2addr_b32 v[4:5], v2 offset1:2
	s_wait_dscnt 0x0
	v_add_f32_e32 v4, v5, v4
	ds_store_b32 v2, v4
.LBB7_17:
	s_or_b32 exec_lo, exec_lo, s0
	s_delay_alu instid0(SALU_CYCLE_1)
	s_mov_b32 s0, exec_lo
	s_wait_dscnt 0x0
	s_barrier_signal -1
	s_barrier_wait -1
	v_cmpx_eq_u32_e32 0, v3
	s_cbranch_execz .LBB7_19
; %bb.18:
	ds_load_2addr_b32 v[4:5], v2 offset1:1
	s_wait_dscnt 0x0
	v_add_f32_e32 v3, v5, v4
	ds_store_b32 v2, v3
.LBB7_19:
	s_or_b32 exec_lo, exec_lo, s0
	v_mov_b32_e32 v3, v1
	s_mov_b32 s0, exec_lo
	s_wait_dscnt 0x0
	s_barrier_signal -1
	s_barrier_wait -1
	v_cmpx_gt_u32_e32 13, v0
; %bb.20:
	v_mad_u32_u24 v3, v0, 28, v2
	ds_load_b32 v3, v3
; %bb.21:
	s_or_b32 exec_lo, exec_lo, s0
	s_branch .LBB7_32
.LBB7_22:
                                        ; implicit-def: $vgpr3
	s_cbranch_execz .LBB7_32
; %bb.23:
	s_mov_b32 s0, exec_lo
	v_cmpx_gt_u32_e32 52, v0
	s_cbranch_execz .LBB7_25
; %bb.24:
	ds_load_2addr_b32 v[4:5], v2 offset1:52
	s_wait_dscnt 0x0
	v_add_f32_e32 v3, v5, v4
	ds_store_b32 v2, v3
.LBB7_25:
	s_or_b32 exec_lo, exec_lo, s0
	s_delay_alu instid0(SALU_CYCLE_1)
	s_mov_b32 s0, exec_lo
	s_wait_dscnt 0x0
	s_barrier_signal -1
	s_barrier_wait -1
	v_cmpx_gt_u32_e32 26, v0
	s_cbranch_execz .LBB7_27
; %bb.26:
	ds_load_2addr_b32 v[4:5], v2 offset1:26
	s_wait_dscnt 0x0
	v_add_f32_e32 v3, v5, v4
	ds_store_b32 v2, v3
.LBB7_27:
	s_or_b32 exec_lo, exec_lo, s0
	s_delay_alu instid0(SALU_CYCLE_1)
	s_mov_b32 s0, exec_lo
	s_wait_dscnt 0x0
	v_cmpx_lt_u32_e32 12, v0
	s_xor_b32 s0, exec_lo, s0
; %bb.28:
                                        ; implicit-def: $vgpr2
; %bb.29:
	s_delay_alu instid0(SALU_CYCLE_1)
	s_and_not1_saveexec_b32 s0, s0
	s_cbranch_execz .LBB7_31
; %bb.30:
	ds_load_2addr_b32 v[4:5], v2 offset1:13
	s_wait_dscnt 0x0
	v_add_f32_e32 v1, v5, v4
	ds_store_b32 v2, v1
	s_wait_dscnt 0x0
	ds_load_b32 v1, v2
.LBB7_31:
	s_or_b32 exec_lo, exec_lo, s0
	s_wait_dscnt 0x0
	v_mov_b32_e32 v3, v1
.LBB7_32:
	s_mov_b32 s0, exec_lo
	v_cmpx_gt_u32_e32 13, v0
	s_cbranch_execz .LBB7_36
; %bb.33:
	v_mad_u32 v0, s12, 13, v0
	s_wait_dscnt 0x0
	v_mul_f32_e32 v1, s8, v3
	s_cmp_eq_f32 s2, 0
	s_mov_b32 s0, 0
	s_cbranch_scc0 .LBB7_37
; %bb.34:
	global_store_b32 v0, v1, s[10:11] scale_offset
	s_and_not1_b32 vcc_lo, exec_lo, s0
	s_cbranch_vccnz .LBB7_36
.LBB7_35:
	global_load_b32 v2, v0, s[10:11] scale_offset
	s_wait_loadcnt 0x0
	s_wait_xcnt 0x1
	v_fmac_f32_e32 v1, s2, v2
	global_store_b32 v0, v1, s[10:11] scale_offset
.LBB7_36:
	s_endpgm
.LBB7_37:
	s_branch .LBB7_35
	.section	.rodata,"a",@progbits
	.p2align	6, 0x0
	.amdhsa_kernel _ZN9rocsparseL22gebsrmvn_mxn_16_kernelILj104ELj13ELj8EfEEvi20rocsparse_direction_NS_24const_host_device_scalarIT2_EEPKiS6_PKS3_iiS8_S4_PS3_21rocsparse_index_base_b
		.amdhsa_group_segment_fixed_size 416
		.amdhsa_private_segment_fixed_size 0
		.amdhsa_kernarg_size 80
		.amdhsa_user_sgpr_count 2
		.amdhsa_user_sgpr_dispatch_ptr 0
		.amdhsa_user_sgpr_queue_ptr 0
		.amdhsa_user_sgpr_kernarg_segment_ptr 1
		.amdhsa_user_sgpr_dispatch_id 0
		.amdhsa_user_sgpr_kernarg_preload_length 0
		.amdhsa_user_sgpr_kernarg_preload_offset 0
		.amdhsa_user_sgpr_private_segment_size 0
		.amdhsa_wavefront_size32 1
		.amdhsa_uses_dynamic_stack 0
		.amdhsa_enable_private_segment 0
		.amdhsa_system_sgpr_workgroup_id_x 1
		.amdhsa_system_sgpr_workgroup_id_y 0
		.amdhsa_system_sgpr_workgroup_id_z 0
		.amdhsa_system_sgpr_workgroup_info 0
		.amdhsa_system_vgpr_workitem_id 0
		.amdhsa_next_free_vgpr 9
		.amdhsa_next_free_sgpr 20
		.amdhsa_named_barrier_count 0
		.amdhsa_reserve_vcc 1
		.amdhsa_float_round_mode_32 0
		.amdhsa_float_round_mode_16_64 0
		.amdhsa_float_denorm_mode_32 3
		.amdhsa_float_denorm_mode_16_64 3
		.amdhsa_fp16_overflow 0
		.amdhsa_memory_ordered 1
		.amdhsa_forward_progress 1
		.amdhsa_inst_pref_size 8
		.amdhsa_round_robin_scheduling 0
		.amdhsa_exception_fp_ieee_invalid_op 0
		.amdhsa_exception_fp_denorm_src 0
		.amdhsa_exception_fp_ieee_div_zero 0
		.amdhsa_exception_fp_ieee_overflow 0
		.amdhsa_exception_fp_ieee_underflow 0
		.amdhsa_exception_fp_ieee_inexact 0
		.amdhsa_exception_int_div_zero 0
	.end_amdhsa_kernel
	.section	.text._ZN9rocsparseL22gebsrmvn_mxn_16_kernelILj104ELj13ELj8EfEEvi20rocsparse_direction_NS_24const_host_device_scalarIT2_EEPKiS6_PKS3_iiS8_S4_PS3_21rocsparse_index_base_b,"axG",@progbits,_ZN9rocsparseL22gebsrmvn_mxn_16_kernelILj104ELj13ELj8EfEEvi20rocsparse_direction_NS_24const_host_device_scalarIT2_EEPKiS6_PKS3_iiS8_S4_PS3_21rocsparse_index_base_b,comdat
.Lfunc_end7:
	.size	_ZN9rocsparseL22gebsrmvn_mxn_16_kernelILj104ELj13ELj8EfEEvi20rocsparse_direction_NS_24const_host_device_scalarIT2_EEPKiS6_PKS3_iiS8_S4_PS3_21rocsparse_index_base_b, .Lfunc_end7-_ZN9rocsparseL22gebsrmvn_mxn_16_kernelILj104ELj13ELj8EfEEvi20rocsparse_direction_NS_24const_host_device_scalarIT2_EEPKiS6_PKS3_iiS8_S4_PS3_21rocsparse_index_base_b
                                        ; -- End function
	.set _ZN9rocsparseL22gebsrmvn_mxn_16_kernelILj104ELj13ELj8EfEEvi20rocsparse_direction_NS_24const_host_device_scalarIT2_EEPKiS6_PKS3_iiS8_S4_PS3_21rocsparse_index_base_b.num_vgpr, 9
	.set _ZN9rocsparseL22gebsrmvn_mxn_16_kernelILj104ELj13ELj8EfEEvi20rocsparse_direction_NS_24const_host_device_scalarIT2_EEPKiS6_PKS3_iiS8_S4_PS3_21rocsparse_index_base_b.num_agpr, 0
	.set _ZN9rocsparseL22gebsrmvn_mxn_16_kernelILj104ELj13ELj8EfEEvi20rocsparse_direction_NS_24const_host_device_scalarIT2_EEPKiS6_PKS3_iiS8_S4_PS3_21rocsparse_index_base_b.numbered_sgpr, 20
	.set _ZN9rocsparseL22gebsrmvn_mxn_16_kernelILj104ELj13ELj8EfEEvi20rocsparse_direction_NS_24const_host_device_scalarIT2_EEPKiS6_PKS3_iiS8_S4_PS3_21rocsparse_index_base_b.num_named_barrier, 0
	.set _ZN9rocsparseL22gebsrmvn_mxn_16_kernelILj104ELj13ELj8EfEEvi20rocsparse_direction_NS_24const_host_device_scalarIT2_EEPKiS6_PKS3_iiS8_S4_PS3_21rocsparse_index_base_b.private_seg_size, 0
	.set _ZN9rocsparseL22gebsrmvn_mxn_16_kernelILj104ELj13ELj8EfEEvi20rocsparse_direction_NS_24const_host_device_scalarIT2_EEPKiS6_PKS3_iiS8_S4_PS3_21rocsparse_index_base_b.uses_vcc, 1
	.set _ZN9rocsparseL22gebsrmvn_mxn_16_kernelILj104ELj13ELj8EfEEvi20rocsparse_direction_NS_24const_host_device_scalarIT2_EEPKiS6_PKS3_iiS8_S4_PS3_21rocsparse_index_base_b.uses_flat_scratch, 0
	.set _ZN9rocsparseL22gebsrmvn_mxn_16_kernelILj104ELj13ELj8EfEEvi20rocsparse_direction_NS_24const_host_device_scalarIT2_EEPKiS6_PKS3_iiS8_S4_PS3_21rocsparse_index_base_b.has_dyn_sized_stack, 0
	.set _ZN9rocsparseL22gebsrmvn_mxn_16_kernelILj104ELj13ELj8EfEEvi20rocsparse_direction_NS_24const_host_device_scalarIT2_EEPKiS6_PKS3_iiS8_S4_PS3_21rocsparse_index_base_b.has_recursion, 0
	.set _ZN9rocsparseL22gebsrmvn_mxn_16_kernelILj104ELj13ELj8EfEEvi20rocsparse_direction_NS_24const_host_device_scalarIT2_EEPKiS6_PKS3_iiS8_S4_PS3_21rocsparse_index_base_b.has_indirect_call, 0
	.section	.AMDGPU.csdata,"",@progbits
; Kernel info:
; codeLenInByte = 996
; TotalNumSgprs: 22
; NumVgprs: 9
; ScratchSize: 0
; MemoryBound: 0
; FloatMode: 240
; IeeeMode: 1
; LDSByteSize: 416 bytes/workgroup (compile time only)
; SGPRBlocks: 0
; VGPRBlocks: 0
; NumSGPRsForWavesPerEU: 22
; NumVGPRsForWavesPerEU: 9
; NamedBarCnt: 0
; Occupancy: 16
; WaveLimiterHint : 1
; COMPUTE_PGM_RSRC2:SCRATCH_EN: 0
; COMPUTE_PGM_RSRC2:USER_SGPR: 2
; COMPUTE_PGM_RSRC2:TRAP_HANDLER: 0
; COMPUTE_PGM_RSRC2:TGID_X_EN: 1
; COMPUTE_PGM_RSRC2:TGID_Y_EN: 0
; COMPUTE_PGM_RSRC2:TGID_Z_EN: 0
; COMPUTE_PGM_RSRC2:TIDIG_COMP_CNT: 0
	.section	.text._ZN9rocsparseL23gebsrmvn_general_kernelILj256ELj16EfEEvi20rocsparse_direction_NS_24const_host_device_scalarIT1_EEPKiS6_PKS3_iiS8_S4_PS3_21rocsparse_index_base_b,"axG",@progbits,_ZN9rocsparseL23gebsrmvn_general_kernelILj256ELj16EfEEvi20rocsparse_direction_NS_24const_host_device_scalarIT1_EEPKiS6_PKS3_iiS8_S4_PS3_21rocsparse_index_base_b,comdat
	.globl	_ZN9rocsparseL23gebsrmvn_general_kernelILj256ELj16EfEEvi20rocsparse_direction_NS_24const_host_device_scalarIT1_EEPKiS6_PKS3_iiS8_S4_PS3_21rocsparse_index_base_b ; -- Begin function _ZN9rocsparseL23gebsrmvn_general_kernelILj256ELj16EfEEvi20rocsparse_direction_NS_24const_host_device_scalarIT1_EEPKiS6_PKS3_iiS8_S4_PS3_21rocsparse_index_base_b
	.p2align	8
	.type	_ZN9rocsparseL23gebsrmvn_general_kernelILj256ELj16EfEEvi20rocsparse_direction_NS_24const_host_device_scalarIT1_EEPKiS6_PKS3_iiS8_S4_PS3_21rocsparse_index_base_b,@function
_ZN9rocsparseL23gebsrmvn_general_kernelILj256ELj16EfEEvi20rocsparse_direction_NS_24const_host_device_scalarIT1_EEPKiS6_PKS3_iiS8_S4_PS3_21rocsparse_index_base_b: ; @_ZN9rocsparseL23gebsrmvn_general_kernelILj256ELj16EfEEvi20rocsparse_direction_NS_24const_host_device_scalarIT1_EEPKiS6_PKS3_iiS8_S4_PS3_21rocsparse_index_base_b
; %bb.0:
	s_clause 0x2
	s_load_b64 s[2:3], s[0:1], 0x48
	s_load_b64 s[8:9], s[0:1], 0x8
	;; [unrolled: 1-line block ×3, first 2 shown]
	s_wait_kmcnt 0x0
	s_bitcmp1_b32 s3, 0
	s_cselect_b32 s3, -1, 0
	s_delay_alu instid0(SALU_CYCLE_1)
	s_and_b32 vcc_lo, exec_lo, s3
	s_xor_b32 s3, s3, -1
	s_cbranch_vccnz .LBB8_2
; %bb.1:
	s_load_b32 s8, s[8:9], 0x0
.LBB8_2:
	s_and_not1_b32 vcc_lo, exec_lo, s3
	s_cbranch_vccnz .LBB8_4
; %bb.3:
	s_load_b32 s10, s[10:11], 0x0
.LBB8_4:
	s_wait_kmcnt 0x0
	s_cmp_eq_f32 s8, 0
	s_cselect_b32 s3, -1, 0
	s_cmp_eq_f32 s10, 1.0
	s_cselect_b32 s4, -1, 0
	s_delay_alu instid0(SALU_CYCLE_1) | instskip(NEXT) | instid1(SALU_CYCLE_1)
	s_and_b32 s3, s3, s4
	s_and_b32 vcc_lo, exec_lo, s3
	s_cbranch_vccnz .LBB8_24
; %bb.5:
	s_load_b64 s[12:13], s[0:1], 0x28
	v_lshrrev_b32_e32 v1, 4, v0
	s_mov_b32 s3, exec_lo
	s_wait_kmcnt 0x0
	s_delay_alu instid0(VALU_DEP_1)
	v_cmpx_gt_i32_e64 s12, v1
	s_cbranch_execz .LBB8_24
; %bb.6:
	s_load_b128 s[4:7], s[0:1], 0x10
	s_bfe_u32 s3, ttmp6, 0x4000c
	s_and_b32 s9, ttmp6, 15
	s_add_co_i32 s3, s3, 1
	s_getreg_b32 s11, hwreg(HW_REG_IB_STS2, 6, 4)
	s_mul_i32 s3, ttmp9, s3
	v_mbcnt_lo_u32_b32 v3, -1, 0
	s_add_co_i32 s9, s9, s3
	s_cmp_eq_u32 s11, 0
	s_mov_b32 s3, 0
	s_cselect_b32 s18, ttmp9, s9
	v_xor_b32_e32 v4, 4, v3
	s_ashr_i32 s19, s18, 31
	v_xor_b32_e32 v2, 8, v3
	s_lshl_b64 s[14:15], s[18:19], 2
	s_load_b32 s19, s[0:1], 0x4
	s_mul_i32 s23, s12, s18
	s_mul_i32 s25, s13, s12
	v_cmp_gt_i32_e32 vcc_lo, 32, v2
	v_and_b32_e32 v0, 15, v0
	s_wait_kmcnt 0x0
	s_add_nc_u64 s[4:5], s[4:5], s[14:15]
	s_load_b64 s[20:21], s[4:5], 0x0
	v_cndmask_b32_e32 v2, v3, v2, vcc_lo
	s_wait_xcnt 0x0
	s_clause 0x2
	s_load_b64 s[4:5], s[0:1], 0x20
	s_load_b64 s[14:15], s[0:1], 0x30
	;; [unrolled: 1-line block ×3, first 2 shown]
	s_wait_xcnt 0x0
	v_cmp_gt_i32_e64 s0, s13, v0
	v_cmp_eq_u32_e64 s1, 15, v0
	v_lshlrev_b32_e32 v2, 2, v2
	v_cmp_gt_i32_e32 vcc_lo, 32, v4
	v_dual_cndmask_b32 v4, v3, v4, vcc_lo :: v_dual_bitop2_b32 v5, 2, v3 bitop3:0x14
	s_delay_alu instid0(VALU_DEP_1)
	v_cmp_gt_i32_e32 vcc_lo, 32, v5
	v_xor_b32_e32 v7, 1, v3
	s_wait_kmcnt 0x0
	s_sub_co_i32 s9, s20, s2
	s_sub_co_i32 s11, s21, s2
	v_mad_u32 v6, s12, s9, v1
	v_cndmask_b32_e32 v5, v3, v5, vcc_lo
	v_cmp_gt_i32_e32 vcc_lo, 32, v7
	s_cmp_lt_i32 s20, s21
	s_cselect_b32 s20, -1, 0
	s_cmp_lg_u32 s19, 0
	v_dual_cndmask_b32 v7, v3, v7, vcc_lo :: v_dual_lshlrev_b32 v5, 2, v5
	v_lshlrev_b32_e32 v3, 2, v4
	s_cselect_b32 s21, -1, 0
	v_mul_lo_u32 v4, s13, v6
	s_cmp_eq_f32 s10, 0
	v_lshlrev_b32_e32 v6, 2, v7
	s_cselect_b32 s22, -1, 0
	s_lshl_b32 s24, s13, 4
	s_branch .LBB8_8
.LBB8_7:                                ;   in Loop: Header=BB8_8 Depth=1
	s_wait_xcnt 0x0
	s_or_b32 exec_lo, exec_lo, s18
	v_dual_add_nc_u32 v1, 16, v1 :: v_dual_add_nc_u32 v4, s24, v4
	s_delay_alu instid0(VALU_DEP_1) | instskip(SKIP_1) | instid1(SALU_CYCLE_1)
	v_cmp_le_i32_e32 vcc_lo, s12, v1
	s_or_b32 s3, vcc_lo, s3
	s_and_not1_b32 exec_lo, exec_lo, s3
	s_cbranch_execz .LBB8_24
.LBB8_8:                                ; =>This Loop Header: Depth=1
                                        ;     Child Loop BB8_12 Depth 2
                                        ;       Child Loop BB8_15 Depth 3
	v_mov_b32_e32 v7, 0
	s_and_not1_b32 vcc_lo, exec_lo, s20
	s_cbranch_vccnz .LBB8_19
; %bb.9:                                ;   in Loop: Header=BB8_8 Depth=1
	s_wait_dscnt 0x0
	s_delay_alu instid0(VALU_DEP_3)
	v_dual_mov_b32 v7, 0 :: v_dual_mov_b32 v8, v4
	s_mov_b32 s18, s9
	s_branch .LBB8_12
.LBB8_10:                               ;   in Loop: Header=BB8_12 Depth=2
	s_or_b32 exec_lo, exec_lo, s27
.LBB8_11:                               ;   in Loop: Header=BB8_12 Depth=2
	s_delay_alu instid0(SALU_CYCLE_1) | instskip(SKIP_2) | instid1(SALU_CYCLE_1)
	s_or_b32 exec_lo, exec_lo, s26
	v_add_nc_u32_e32 v8, s25, v8
	s_add_co_i32 s18, s18, 1
	s_cmp_ge_i32 s18, s11
	s_cbranch_scc1 .LBB8_19
.LBB8_12:                               ;   Parent Loop BB8_8 Depth=1
                                        ; =>  This Loop Header: Depth=2
                                        ;       Child Loop BB8_15 Depth 3
	s_and_saveexec_b32 s26, s0
	s_cbranch_execz .LBB8_11
; %bb.13:                               ;   in Loop: Header=BB8_12 Depth=2
	s_ashr_i32 s19, s18, 31
	v_mov_b32_e32 v9, v0
	s_lshl_b64 s[28:29], s[18:19], 2
	s_mov_b32 s27, 0
	s_add_nc_u64 s[28:29], s[6:7], s[28:29]
	s_load_b32 s19, s[28:29], 0x0
	s_wait_kmcnt 0x0
	s_wait_xcnt 0x0
	s_sub_co_i32 s28, s19, s2
	s_mul_i32 s19, s18, s13
	s_mul_i32 s28, s28, s13
	s_branch .LBB8_15
.LBB8_14:                               ;   in Loop: Header=BB8_15 Depth=3
	v_dual_add_nc_u32 v11, s28, v9 :: v_dual_add_nc_u32 v9, 16, v9
	global_load_b32 v12, v10, s[4:5] scale_offset
	global_load_b32 v13, v11, s[14:15] scale_offset
	v_cmp_le_i32_e32 vcc_lo, s13, v9
	s_or_b32 s27, vcc_lo, s27
	s_wait_loadcnt 0x0
	v_fmac_f32_e32 v7, v12, v13
	s_wait_xcnt 0x0
	s_and_not1_b32 exec_lo, exec_lo, s27
	s_cbranch_execz .LBB8_10
.LBB8_15:                               ;   Parent Loop BB8_8 Depth=1
                                        ;     Parent Loop BB8_12 Depth=2
                                        ; =>    This Inner Loop Header: Depth=3
	s_and_b32 vcc_lo, exec_lo, s21
	s_cbranch_vccz .LBB8_17
; %bb.16:                               ;   in Loop: Header=BB8_15 Depth=3
	v_add_nc_u32_e32 v10, s19, v9
	s_delay_alu instid0(VALU_DEP_1)
	v_mad_u32 v10, v10, s12, v1
	s_cbranch_execnz .LBB8_14
	s_branch .LBB8_18
.LBB8_17:                               ;   in Loop: Header=BB8_15 Depth=3
                                        ; implicit-def: $vgpr10
.LBB8_18:                               ;   in Loop: Header=BB8_15 Depth=3
	v_add_nc_u32_e32 v10, v8, v9
	s_branch .LBB8_14
.LBB8_19:                               ;   in Loop: Header=BB8_8 Depth=1
	s_wait_dscnt 0x0
	ds_bpermute_b32 v8, v2, v7
	s_wait_dscnt 0x0
	v_add_f32_e32 v7, v7, v8
	ds_bpermute_b32 v8, v3, v7
	s_wait_dscnt 0x0
	v_add_f32_e32 v7, v7, v8
	;; [unrolled: 3-line block ×3, first 2 shown]
	ds_bpermute_b32 v8, v6, v7
	s_and_saveexec_b32 s18, s1
	s_cbranch_execz .LBB8_7
; %bb.20:                               ;   in Loop: Header=BB8_8 Depth=1
	s_wait_dscnt 0x0
	v_dual_add_f32 v7, v7, v8 :: v_dual_add_nc_u32 v8, s23, v1
	s_and_b32 vcc_lo, exec_lo, s22
	s_delay_alu instid0(VALU_DEP_1)
	v_mul_f32_e32 v7, s8, v7
	s_cbranch_vccz .LBB8_22
; %bb.21:                               ;   in Loop: Header=BB8_8 Depth=1
	global_store_b32 v8, v7, s[16:17] scale_offset
	s_cbranch_execnz .LBB8_7
	s_branch .LBB8_23
.LBB8_22:                               ;   in Loop: Header=BB8_8 Depth=1
.LBB8_23:                               ;   in Loop: Header=BB8_8 Depth=1
	global_load_b32 v9, v8, s[16:17] scale_offset
	s_wait_loadcnt 0x0
	s_wait_xcnt 0x1
	v_fmac_f32_e32 v7, s10, v9
	global_store_b32 v8, v7, s[16:17] scale_offset
	s_branch .LBB8_7
.LBB8_24:
	s_endpgm
	.section	.rodata,"a",@progbits
	.p2align	6, 0x0
	.amdhsa_kernel _ZN9rocsparseL23gebsrmvn_general_kernelILj256ELj16EfEEvi20rocsparse_direction_NS_24const_host_device_scalarIT1_EEPKiS6_PKS3_iiS8_S4_PS3_21rocsparse_index_base_b
		.amdhsa_group_segment_fixed_size 0
		.amdhsa_private_segment_fixed_size 0
		.amdhsa_kernarg_size 80
		.amdhsa_user_sgpr_count 2
		.amdhsa_user_sgpr_dispatch_ptr 0
		.amdhsa_user_sgpr_queue_ptr 0
		.amdhsa_user_sgpr_kernarg_segment_ptr 1
		.amdhsa_user_sgpr_dispatch_id 0
		.amdhsa_user_sgpr_kernarg_preload_length 0
		.amdhsa_user_sgpr_kernarg_preload_offset 0
		.amdhsa_user_sgpr_private_segment_size 0
		.amdhsa_wavefront_size32 1
		.amdhsa_uses_dynamic_stack 0
		.amdhsa_enable_private_segment 0
		.amdhsa_system_sgpr_workgroup_id_x 1
		.amdhsa_system_sgpr_workgroup_id_y 0
		.amdhsa_system_sgpr_workgroup_id_z 0
		.amdhsa_system_sgpr_workgroup_info 0
		.amdhsa_system_vgpr_workitem_id 0
		.amdhsa_next_free_vgpr 14
		.amdhsa_next_free_sgpr 30
		.amdhsa_named_barrier_count 0
		.amdhsa_reserve_vcc 1
		.amdhsa_float_round_mode_32 0
		.amdhsa_float_round_mode_16_64 0
		.amdhsa_float_denorm_mode_32 3
		.amdhsa_float_denorm_mode_16_64 3
		.amdhsa_fp16_overflow 0
		.amdhsa_memory_ordered 1
		.amdhsa_forward_progress 1
		.amdhsa_inst_pref_size 7
		.amdhsa_round_robin_scheduling 0
		.amdhsa_exception_fp_ieee_invalid_op 0
		.amdhsa_exception_fp_denorm_src 0
		.amdhsa_exception_fp_ieee_div_zero 0
		.amdhsa_exception_fp_ieee_overflow 0
		.amdhsa_exception_fp_ieee_underflow 0
		.amdhsa_exception_fp_ieee_inexact 0
		.amdhsa_exception_int_div_zero 0
	.end_amdhsa_kernel
	.section	.text._ZN9rocsparseL23gebsrmvn_general_kernelILj256ELj16EfEEvi20rocsparse_direction_NS_24const_host_device_scalarIT1_EEPKiS6_PKS3_iiS8_S4_PS3_21rocsparse_index_base_b,"axG",@progbits,_ZN9rocsparseL23gebsrmvn_general_kernelILj256ELj16EfEEvi20rocsparse_direction_NS_24const_host_device_scalarIT1_EEPKiS6_PKS3_iiS8_S4_PS3_21rocsparse_index_base_b,comdat
.Lfunc_end8:
	.size	_ZN9rocsparseL23gebsrmvn_general_kernelILj256ELj16EfEEvi20rocsparse_direction_NS_24const_host_device_scalarIT1_EEPKiS6_PKS3_iiS8_S4_PS3_21rocsparse_index_base_b, .Lfunc_end8-_ZN9rocsparseL23gebsrmvn_general_kernelILj256ELj16EfEEvi20rocsparse_direction_NS_24const_host_device_scalarIT1_EEPKiS6_PKS3_iiS8_S4_PS3_21rocsparse_index_base_b
                                        ; -- End function
	.set _ZN9rocsparseL23gebsrmvn_general_kernelILj256ELj16EfEEvi20rocsparse_direction_NS_24const_host_device_scalarIT1_EEPKiS6_PKS3_iiS8_S4_PS3_21rocsparse_index_base_b.num_vgpr, 14
	.set _ZN9rocsparseL23gebsrmvn_general_kernelILj256ELj16EfEEvi20rocsparse_direction_NS_24const_host_device_scalarIT1_EEPKiS6_PKS3_iiS8_S4_PS3_21rocsparse_index_base_b.num_agpr, 0
	.set _ZN9rocsparseL23gebsrmvn_general_kernelILj256ELj16EfEEvi20rocsparse_direction_NS_24const_host_device_scalarIT1_EEPKiS6_PKS3_iiS8_S4_PS3_21rocsparse_index_base_b.numbered_sgpr, 30
	.set _ZN9rocsparseL23gebsrmvn_general_kernelILj256ELj16EfEEvi20rocsparse_direction_NS_24const_host_device_scalarIT1_EEPKiS6_PKS3_iiS8_S4_PS3_21rocsparse_index_base_b.num_named_barrier, 0
	.set _ZN9rocsparseL23gebsrmvn_general_kernelILj256ELj16EfEEvi20rocsparse_direction_NS_24const_host_device_scalarIT1_EEPKiS6_PKS3_iiS8_S4_PS3_21rocsparse_index_base_b.private_seg_size, 0
	.set _ZN9rocsparseL23gebsrmvn_general_kernelILj256ELj16EfEEvi20rocsparse_direction_NS_24const_host_device_scalarIT1_EEPKiS6_PKS3_iiS8_S4_PS3_21rocsparse_index_base_b.uses_vcc, 1
	.set _ZN9rocsparseL23gebsrmvn_general_kernelILj256ELj16EfEEvi20rocsparse_direction_NS_24const_host_device_scalarIT1_EEPKiS6_PKS3_iiS8_S4_PS3_21rocsparse_index_base_b.uses_flat_scratch, 0
	.set _ZN9rocsparseL23gebsrmvn_general_kernelILj256ELj16EfEEvi20rocsparse_direction_NS_24const_host_device_scalarIT1_EEPKiS6_PKS3_iiS8_S4_PS3_21rocsparse_index_base_b.has_dyn_sized_stack, 0
	.set _ZN9rocsparseL23gebsrmvn_general_kernelILj256ELj16EfEEvi20rocsparse_direction_NS_24const_host_device_scalarIT1_EEPKiS6_PKS3_iiS8_S4_PS3_21rocsparse_index_base_b.has_recursion, 0
	.set _ZN9rocsparseL23gebsrmvn_general_kernelILj256ELj16EfEEvi20rocsparse_direction_NS_24const_host_device_scalarIT1_EEPKiS6_PKS3_iiS8_S4_PS3_21rocsparse_index_base_b.has_indirect_call, 0
	.section	.AMDGPU.csdata,"",@progbits
; Kernel info:
; codeLenInByte = 868
; TotalNumSgprs: 32
; NumVgprs: 14
; ScratchSize: 0
; MemoryBound: 0
; FloatMode: 240
; IeeeMode: 1
; LDSByteSize: 0 bytes/workgroup (compile time only)
; SGPRBlocks: 0
; VGPRBlocks: 0
; NumSGPRsForWavesPerEU: 32
; NumVGPRsForWavesPerEU: 14
; NamedBarCnt: 0
; Occupancy: 16
; WaveLimiterHint : 1
; COMPUTE_PGM_RSRC2:SCRATCH_EN: 0
; COMPUTE_PGM_RSRC2:USER_SGPR: 2
; COMPUTE_PGM_RSRC2:TRAP_HANDLER: 0
; COMPUTE_PGM_RSRC2:TGID_X_EN: 1
; COMPUTE_PGM_RSRC2:TGID_Y_EN: 0
; COMPUTE_PGM_RSRC2:TGID_Z_EN: 0
; COMPUTE_PGM_RSRC2:TIDIG_COMP_CNT: 0
	.section	.text._ZN9rocsparseL23gebsrmvn_general_kernelILj512ELj32EfEEvi20rocsparse_direction_NS_24const_host_device_scalarIT1_EEPKiS6_PKS3_iiS8_S4_PS3_21rocsparse_index_base_b,"axG",@progbits,_ZN9rocsparseL23gebsrmvn_general_kernelILj512ELj32EfEEvi20rocsparse_direction_NS_24const_host_device_scalarIT1_EEPKiS6_PKS3_iiS8_S4_PS3_21rocsparse_index_base_b,comdat
	.globl	_ZN9rocsparseL23gebsrmvn_general_kernelILj512ELj32EfEEvi20rocsparse_direction_NS_24const_host_device_scalarIT1_EEPKiS6_PKS3_iiS8_S4_PS3_21rocsparse_index_base_b ; -- Begin function _ZN9rocsparseL23gebsrmvn_general_kernelILj512ELj32EfEEvi20rocsparse_direction_NS_24const_host_device_scalarIT1_EEPKiS6_PKS3_iiS8_S4_PS3_21rocsparse_index_base_b
	.p2align	8
	.type	_ZN9rocsparseL23gebsrmvn_general_kernelILj512ELj32EfEEvi20rocsparse_direction_NS_24const_host_device_scalarIT1_EEPKiS6_PKS3_iiS8_S4_PS3_21rocsparse_index_base_b,@function
_ZN9rocsparseL23gebsrmvn_general_kernelILj512ELj32EfEEvi20rocsparse_direction_NS_24const_host_device_scalarIT1_EEPKiS6_PKS3_iiS8_S4_PS3_21rocsparse_index_base_b: ; @_ZN9rocsparseL23gebsrmvn_general_kernelILj512ELj32EfEEvi20rocsparse_direction_NS_24const_host_device_scalarIT1_EEPKiS6_PKS3_iiS8_S4_PS3_21rocsparse_index_base_b
; %bb.0:
	s_clause 0x2
	s_load_b64 s[2:3], s[0:1], 0x48
	s_load_b64 s[8:9], s[0:1], 0x8
	;; [unrolled: 1-line block ×3, first 2 shown]
	s_wait_kmcnt 0x0
	s_bitcmp1_b32 s3, 0
	s_cselect_b32 s3, -1, 0
	s_delay_alu instid0(SALU_CYCLE_1)
	s_and_b32 vcc_lo, exec_lo, s3
	s_xor_b32 s3, s3, -1
	s_cbranch_vccnz .LBB9_2
; %bb.1:
	s_load_b32 s8, s[8:9], 0x0
.LBB9_2:
	s_and_not1_b32 vcc_lo, exec_lo, s3
	s_cbranch_vccnz .LBB9_4
; %bb.3:
	s_load_b32 s10, s[10:11], 0x0
.LBB9_4:
	s_wait_kmcnt 0x0
	s_cmp_eq_f32 s8, 0
	s_cselect_b32 s3, -1, 0
	s_cmp_eq_f32 s10, 1.0
	s_cselect_b32 s4, -1, 0
	s_delay_alu instid0(SALU_CYCLE_1) | instskip(NEXT) | instid1(SALU_CYCLE_1)
	s_and_b32 s3, s3, s4
	s_and_b32 vcc_lo, exec_lo, s3
	s_cbranch_vccnz .LBB9_24
; %bb.5:
	s_load_b64 s[12:13], s[0:1], 0x28
	v_lshrrev_b32_e32 v1, 5, v0
	s_mov_b32 s3, exec_lo
	s_wait_kmcnt 0x0
	s_delay_alu instid0(VALU_DEP_1)
	v_cmpx_gt_i32_e64 s12, v1
	s_cbranch_execz .LBB9_24
; %bb.6:
	s_load_b128 s[4:7], s[0:1], 0x10
	s_bfe_u32 s3, ttmp6, 0x4000c
	s_and_b32 s9, ttmp6, 15
	s_add_co_i32 s3, s3, 1
	s_getreg_b32 s11, hwreg(HW_REG_IB_STS2, 6, 4)
	s_mul_i32 s3, ttmp9, s3
	v_mbcnt_lo_u32_b32 v4, -1, 0
	s_add_co_i32 s9, s9, s3
	s_cmp_eq_u32 s11, 0
	s_mov_b32 s3, 0
	s_cselect_b32 s18, ttmp9, s9
	v_xor_b32_e32 v3, 8, v4
	v_xor_b32_e32 v2, 16, v4
	s_ashr_i32 s19, s18, 31
	s_mul_i32 s23, s12, s18
	s_lshl_b64 s[14:15], s[18:19], 2
	s_load_b32 s19, s[0:1], 0x4
	v_cmp_gt_i32_e32 vcc_lo, 32, v2
	v_and_b32_e32 v0, 31, v0
	s_mul_i32 s25, s13, s12
	s_wait_kmcnt 0x0
	s_add_nc_u64 s[4:5], s[4:5], s[14:15]
	v_cndmask_b32_e32 v2, v4, v2, vcc_lo
	s_load_b64 s[20:21], s[4:5], 0x0
	s_wait_xcnt 0x0
	s_clause 0x2
	s_load_b64 s[4:5], s[0:1], 0x20
	s_load_b64 s[14:15], s[0:1], 0x30
	;; [unrolled: 1-line block ×3, first 2 shown]
	s_wait_xcnt 0x0
	v_cmp_gt_i32_e64 s0, s13, v0
	v_cmp_eq_u32_e64 s1, 31, v0
	v_lshlrev_b32_e32 v2, 2, v2
	v_cmp_gt_i32_e32 vcc_lo, 32, v3
	v_dual_cndmask_b32 v3, v4, v3, vcc_lo :: v_dual_bitop2_b32 v5, 4, v4 bitop3:0x14
	s_delay_alu instid0(VALU_DEP_1) | instskip(NEXT) | instid1(VALU_DEP_2)
	v_lshlrev_b32_e32 v3, 2, v3
	v_cmp_gt_i32_e32 vcc_lo, 32, v5
	v_xor_b32_e32 v6, 2, v4
	s_wait_kmcnt 0x0
	s_sub_co_i32 s9, s20, s2
	v_cndmask_b32_e32 v5, v4, v5, vcc_lo
	v_mad_u32 v7, s12, s9, v1
	v_cmp_gt_i32_e32 vcc_lo, 32, v6
	v_xor_b32_e32 v8, 1, v4
	s_sub_co_i32 s11, s21, s2
	s_cmp_lt_i32 s20, s21
	v_cndmask_b32_e32 v6, v4, v6, vcc_lo
	s_delay_alu instid0(VALU_DEP_2)
	v_cmp_gt_i32_e32 vcc_lo, 32, v8
	s_cselect_b32 s20, -1, 0
	s_cmp_lg_u32 s19, 0
	s_cselect_b32 s21, -1, 0
	v_dual_cndmask_b32 v8, v4, v8, vcc_lo :: v_dual_lshlrev_b32 v4, 2, v5
	v_mul_lo_u32 v5, s13, v7
	s_cmp_eq_f32 s10, 0
	s_delay_alu instid0(VALU_DEP_2)
	v_dual_lshlrev_b32 v6, 2, v6 :: v_dual_lshlrev_b32 v7, 2, v8
	s_cselect_b32 s22, -1, 0
	s_lshl_b32 s24, s13, 4
	s_branch .LBB9_8
.LBB9_7:                                ;   in Loop: Header=BB9_8 Depth=1
	s_wait_xcnt 0x0
	s_or_b32 exec_lo, exec_lo, s18
	v_add_nc_u32_e32 v1, 16, v1
	v_add_nc_u32_e32 v5, s24, v5
	s_delay_alu instid0(VALU_DEP_2) | instskip(SKIP_1) | instid1(SALU_CYCLE_1)
	v_cmp_le_i32_e32 vcc_lo, s12, v1
	s_or_b32 s3, vcc_lo, s3
	s_and_not1_b32 exec_lo, exec_lo, s3
	s_cbranch_execz .LBB9_24
.LBB9_8:                                ; =>This Loop Header: Depth=1
                                        ;     Child Loop BB9_12 Depth 2
                                        ;       Child Loop BB9_15 Depth 3
	v_mov_b32_e32 v8, 0
	s_and_not1_b32 vcc_lo, exec_lo, s20
	s_cbranch_vccnz .LBB9_19
; %bb.9:                                ;   in Loop: Header=BB9_8 Depth=1
	s_wait_dscnt 0x0
	s_delay_alu instid0(VALU_DEP_3)
	v_dual_mov_b32 v8, 0 :: v_dual_mov_b32 v9, v5
	s_mov_b32 s18, s9
	s_branch .LBB9_12
.LBB9_10:                               ;   in Loop: Header=BB9_12 Depth=2
	s_or_b32 exec_lo, exec_lo, s27
.LBB9_11:                               ;   in Loop: Header=BB9_12 Depth=2
	s_delay_alu instid0(SALU_CYCLE_1) | instskip(SKIP_2) | instid1(SALU_CYCLE_1)
	s_or_b32 exec_lo, exec_lo, s26
	v_add_nc_u32_e32 v9, s25, v9
	s_add_co_i32 s18, s18, 1
	s_cmp_ge_i32 s18, s11
	s_cbranch_scc1 .LBB9_19
.LBB9_12:                               ;   Parent Loop BB9_8 Depth=1
                                        ; =>  This Loop Header: Depth=2
                                        ;       Child Loop BB9_15 Depth 3
	s_and_saveexec_b32 s26, s0
	s_cbranch_execz .LBB9_11
; %bb.13:                               ;   in Loop: Header=BB9_12 Depth=2
	s_ashr_i32 s19, s18, 31
	v_mov_b32_e32 v10, v0
	s_lshl_b64 s[28:29], s[18:19], 2
	s_mov_b32 s27, 0
	s_add_nc_u64 s[28:29], s[6:7], s[28:29]
	s_load_b32 s19, s[28:29], 0x0
	s_wait_kmcnt 0x0
	s_wait_xcnt 0x0
	s_sub_co_i32 s28, s19, s2
	s_mul_i32 s19, s18, s13
	s_mul_i32 s28, s28, s13
	s_branch .LBB9_15
.LBB9_14:                               ;   in Loop: Header=BB9_15 Depth=3
	v_dual_add_nc_u32 v12, s28, v10 :: v_dual_add_nc_u32 v10, 32, v10
	global_load_b32 v13, v11, s[4:5] scale_offset
	global_load_b32 v14, v12, s[14:15] scale_offset
	v_cmp_le_i32_e32 vcc_lo, s13, v10
	s_or_b32 s27, vcc_lo, s27
	s_wait_loadcnt 0x0
	v_fmac_f32_e32 v8, v13, v14
	s_wait_xcnt 0x0
	s_and_not1_b32 exec_lo, exec_lo, s27
	s_cbranch_execz .LBB9_10
.LBB9_15:                               ;   Parent Loop BB9_8 Depth=1
                                        ;     Parent Loop BB9_12 Depth=2
                                        ; =>    This Inner Loop Header: Depth=3
	s_and_b32 vcc_lo, exec_lo, s21
	s_cbranch_vccz .LBB9_17
; %bb.16:                               ;   in Loop: Header=BB9_15 Depth=3
	v_add_nc_u32_e32 v11, s19, v10
	s_delay_alu instid0(VALU_DEP_1)
	v_mad_u32 v11, v11, s12, v1
	s_cbranch_execnz .LBB9_14
	s_branch .LBB9_18
.LBB9_17:                               ;   in Loop: Header=BB9_15 Depth=3
                                        ; implicit-def: $vgpr11
.LBB9_18:                               ;   in Loop: Header=BB9_15 Depth=3
	v_add_nc_u32_e32 v11, v9, v10
	s_branch .LBB9_14
.LBB9_19:                               ;   in Loop: Header=BB9_8 Depth=1
	s_wait_dscnt 0x0
	ds_bpermute_b32 v9, v2, v8
	s_wait_dscnt 0x0
	v_add_f32_e32 v8, v8, v9
	ds_bpermute_b32 v9, v3, v8
	s_wait_dscnt 0x0
	v_add_f32_e32 v8, v8, v9
	;; [unrolled: 3-line block ×4, first 2 shown]
	ds_bpermute_b32 v9, v7, v8
	s_and_saveexec_b32 s18, s1
	s_cbranch_execz .LBB9_7
; %bb.20:                               ;   in Loop: Header=BB9_8 Depth=1
	s_wait_dscnt 0x0
	v_add_f32_e32 v8, v8, v9
	s_and_b32 vcc_lo, exec_lo, s22
	s_delay_alu instid0(VALU_DEP_1)
	v_dual_mul_f32 v8, s8, v8 :: v_dual_add_nc_u32 v9, s23, v1
	s_cbranch_vccz .LBB9_22
; %bb.21:                               ;   in Loop: Header=BB9_8 Depth=1
	global_store_b32 v9, v8, s[16:17] scale_offset
	s_cbranch_execnz .LBB9_7
	s_branch .LBB9_23
.LBB9_22:                               ;   in Loop: Header=BB9_8 Depth=1
.LBB9_23:                               ;   in Loop: Header=BB9_8 Depth=1
	global_load_b32 v10, v9, s[16:17] scale_offset
	s_wait_loadcnt 0x0
	s_wait_xcnt 0x1
	v_fmac_f32_e32 v8, s10, v10
	global_store_b32 v9, v8, s[16:17] scale_offset
	s_branch .LBB9_7
.LBB9_24:
	s_endpgm
	.section	.rodata,"a",@progbits
	.p2align	6, 0x0
	.amdhsa_kernel _ZN9rocsparseL23gebsrmvn_general_kernelILj512ELj32EfEEvi20rocsparse_direction_NS_24const_host_device_scalarIT1_EEPKiS6_PKS3_iiS8_S4_PS3_21rocsparse_index_base_b
		.amdhsa_group_segment_fixed_size 0
		.amdhsa_private_segment_fixed_size 0
		.amdhsa_kernarg_size 80
		.amdhsa_user_sgpr_count 2
		.amdhsa_user_sgpr_dispatch_ptr 0
		.amdhsa_user_sgpr_queue_ptr 0
		.amdhsa_user_sgpr_kernarg_segment_ptr 1
		.amdhsa_user_sgpr_dispatch_id 0
		.amdhsa_user_sgpr_kernarg_preload_length 0
		.amdhsa_user_sgpr_kernarg_preload_offset 0
		.amdhsa_user_sgpr_private_segment_size 0
		.amdhsa_wavefront_size32 1
		.amdhsa_uses_dynamic_stack 0
		.amdhsa_enable_private_segment 0
		.amdhsa_system_sgpr_workgroup_id_x 1
		.amdhsa_system_sgpr_workgroup_id_y 0
		.amdhsa_system_sgpr_workgroup_id_z 0
		.amdhsa_system_sgpr_workgroup_info 0
		.amdhsa_system_vgpr_workitem_id 0
		.amdhsa_next_free_vgpr 15
		.amdhsa_next_free_sgpr 30
		.amdhsa_named_barrier_count 0
		.amdhsa_reserve_vcc 1
		.amdhsa_float_round_mode_32 0
		.amdhsa_float_round_mode_16_64 0
		.amdhsa_float_denorm_mode_32 3
		.amdhsa_float_denorm_mode_16_64 3
		.amdhsa_fp16_overflow 0
		.amdhsa_memory_ordered 1
		.amdhsa_forward_progress 1
		.amdhsa_inst_pref_size 8
		.amdhsa_round_robin_scheduling 0
		.amdhsa_exception_fp_ieee_invalid_op 0
		.amdhsa_exception_fp_denorm_src 0
		.amdhsa_exception_fp_ieee_div_zero 0
		.amdhsa_exception_fp_ieee_overflow 0
		.amdhsa_exception_fp_ieee_underflow 0
		.amdhsa_exception_fp_ieee_inexact 0
		.amdhsa_exception_int_div_zero 0
	.end_amdhsa_kernel
	.section	.text._ZN9rocsparseL23gebsrmvn_general_kernelILj512ELj32EfEEvi20rocsparse_direction_NS_24const_host_device_scalarIT1_EEPKiS6_PKS3_iiS8_S4_PS3_21rocsparse_index_base_b,"axG",@progbits,_ZN9rocsparseL23gebsrmvn_general_kernelILj512ELj32EfEEvi20rocsparse_direction_NS_24const_host_device_scalarIT1_EEPKiS6_PKS3_iiS8_S4_PS3_21rocsparse_index_base_b,comdat
.Lfunc_end9:
	.size	_ZN9rocsparseL23gebsrmvn_general_kernelILj512ELj32EfEEvi20rocsparse_direction_NS_24const_host_device_scalarIT1_EEPKiS6_PKS3_iiS8_S4_PS3_21rocsparse_index_base_b, .Lfunc_end9-_ZN9rocsparseL23gebsrmvn_general_kernelILj512ELj32EfEEvi20rocsparse_direction_NS_24const_host_device_scalarIT1_EEPKiS6_PKS3_iiS8_S4_PS3_21rocsparse_index_base_b
                                        ; -- End function
	.set _ZN9rocsparseL23gebsrmvn_general_kernelILj512ELj32EfEEvi20rocsparse_direction_NS_24const_host_device_scalarIT1_EEPKiS6_PKS3_iiS8_S4_PS3_21rocsparse_index_base_b.num_vgpr, 15
	.set _ZN9rocsparseL23gebsrmvn_general_kernelILj512ELj32EfEEvi20rocsparse_direction_NS_24const_host_device_scalarIT1_EEPKiS6_PKS3_iiS8_S4_PS3_21rocsparse_index_base_b.num_agpr, 0
	.set _ZN9rocsparseL23gebsrmvn_general_kernelILj512ELj32EfEEvi20rocsparse_direction_NS_24const_host_device_scalarIT1_EEPKiS6_PKS3_iiS8_S4_PS3_21rocsparse_index_base_b.numbered_sgpr, 30
	.set _ZN9rocsparseL23gebsrmvn_general_kernelILj512ELj32EfEEvi20rocsparse_direction_NS_24const_host_device_scalarIT1_EEPKiS6_PKS3_iiS8_S4_PS3_21rocsparse_index_base_b.num_named_barrier, 0
	.set _ZN9rocsparseL23gebsrmvn_general_kernelILj512ELj32EfEEvi20rocsparse_direction_NS_24const_host_device_scalarIT1_EEPKiS6_PKS3_iiS8_S4_PS3_21rocsparse_index_base_b.private_seg_size, 0
	.set _ZN9rocsparseL23gebsrmvn_general_kernelILj512ELj32EfEEvi20rocsparse_direction_NS_24const_host_device_scalarIT1_EEPKiS6_PKS3_iiS8_S4_PS3_21rocsparse_index_base_b.uses_vcc, 1
	.set _ZN9rocsparseL23gebsrmvn_general_kernelILj512ELj32EfEEvi20rocsparse_direction_NS_24const_host_device_scalarIT1_EEPKiS6_PKS3_iiS8_S4_PS3_21rocsparse_index_base_b.uses_flat_scratch, 0
	.set _ZN9rocsparseL23gebsrmvn_general_kernelILj512ELj32EfEEvi20rocsparse_direction_NS_24const_host_device_scalarIT1_EEPKiS6_PKS3_iiS8_S4_PS3_21rocsparse_index_base_b.has_dyn_sized_stack, 0
	.set _ZN9rocsparseL23gebsrmvn_general_kernelILj512ELj32EfEEvi20rocsparse_direction_NS_24const_host_device_scalarIT1_EEPKiS6_PKS3_iiS8_S4_PS3_21rocsparse_index_base_b.has_recursion, 0
	.set _ZN9rocsparseL23gebsrmvn_general_kernelILj512ELj32EfEEvi20rocsparse_direction_NS_24const_host_device_scalarIT1_EEPKiS6_PKS3_iiS8_S4_PS3_21rocsparse_index_base_b.has_indirect_call, 0
	.section	.AMDGPU.csdata,"",@progbits
; Kernel info:
; codeLenInByte = 908
; TotalNumSgprs: 32
; NumVgprs: 15
; ScratchSize: 0
; MemoryBound: 0
; FloatMode: 240
; IeeeMode: 1
; LDSByteSize: 0 bytes/workgroup (compile time only)
; SGPRBlocks: 0
; VGPRBlocks: 0
; NumSGPRsForWavesPerEU: 32
; NumVGPRsForWavesPerEU: 15
; NamedBarCnt: 0
; Occupancy: 16
; WaveLimiterHint : 1
; COMPUTE_PGM_RSRC2:SCRATCH_EN: 0
; COMPUTE_PGM_RSRC2:USER_SGPR: 2
; COMPUTE_PGM_RSRC2:TRAP_HANDLER: 0
; COMPUTE_PGM_RSRC2:TGID_X_EN: 1
; COMPUTE_PGM_RSRC2:TGID_Y_EN: 0
; COMPUTE_PGM_RSRC2:TGID_Z_EN: 0
; COMPUTE_PGM_RSRC2:TIDIG_COMP_CNT: 0
	.section	.text._ZN9rocsparseL22gebsrmvn_mxn_16_kernelILj56ELj14ELj1EfEEvi20rocsparse_direction_NS_24const_host_device_scalarIT2_EEPKiS6_PKS3_iiS8_S4_PS3_21rocsparse_index_base_b,"axG",@progbits,_ZN9rocsparseL22gebsrmvn_mxn_16_kernelILj56ELj14ELj1EfEEvi20rocsparse_direction_NS_24const_host_device_scalarIT2_EEPKiS6_PKS3_iiS8_S4_PS3_21rocsparse_index_base_b,comdat
	.globl	_ZN9rocsparseL22gebsrmvn_mxn_16_kernelILj56ELj14ELj1EfEEvi20rocsparse_direction_NS_24const_host_device_scalarIT2_EEPKiS6_PKS3_iiS8_S4_PS3_21rocsparse_index_base_b ; -- Begin function _ZN9rocsparseL22gebsrmvn_mxn_16_kernelILj56ELj14ELj1EfEEvi20rocsparse_direction_NS_24const_host_device_scalarIT2_EEPKiS6_PKS3_iiS8_S4_PS3_21rocsparse_index_base_b
	.p2align	8
	.type	_ZN9rocsparseL22gebsrmvn_mxn_16_kernelILj56ELj14ELj1EfEEvi20rocsparse_direction_NS_24const_host_device_scalarIT2_EEPKiS6_PKS3_iiS8_S4_PS3_21rocsparse_index_base_b,@function
_ZN9rocsparseL22gebsrmvn_mxn_16_kernelILj56ELj14ELj1EfEEvi20rocsparse_direction_NS_24const_host_device_scalarIT2_EEPKiS6_PKS3_iiS8_S4_PS3_21rocsparse_index_base_b: ; @_ZN9rocsparseL22gebsrmvn_mxn_16_kernelILj56ELj14ELj1EfEEvi20rocsparse_direction_NS_24const_host_device_scalarIT2_EEPKiS6_PKS3_iiS8_S4_PS3_21rocsparse_index_base_b
; %bb.0:
	s_clause 0x2
	s_load_b64 s[14:15], s[0:1], 0x48
	s_load_b64 s[8:9], s[0:1], 0x8
	;; [unrolled: 1-line block ×3, first 2 shown]
	s_wait_kmcnt 0x0
	s_bitcmp1_b32 s15, 0
	s_cselect_b32 s4, -1, 0
	s_delay_alu instid0(SALU_CYCLE_1)
	s_and_b32 vcc_lo, exec_lo, s4
	s_xor_b32 s4, s4, -1
	s_cbranch_vccnz .LBB10_2
; %bb.1:
	s_load_b32 s8, s[8:9], 0x0
.LBB10_2:
	s_and_not1_b32 vcc_lo, exec_lo, s4
	s_cbranch_vccnz .LBB10_4
; %bb.3:
	s_load_b32 s2, s[2:3], 0x0
.LBB10_4:
	s_wait_kmcnt 0x0
	s_cmp_eq_f32 s8, 0
	s_cselect_b32 s3, -1, 0
	s_cmp_eq_f32 s2, 1.0
	s_cselect_b32 s4, -1, 0
	s_delay_alu instid0(SALU_CYCLE_1) | instskip(NEXT) | instid1(SALU_CYCLE_1)
	s_and_b32 s3, s3, s4
	s_and_b32 vcc_lo, exec_lo, s3
	s_cbranch_vccnz .LBB10_20
; %bb.5:
	s_load_b64 s[4:5], s[0:1], 0x10
	s_bfe_u32 s3, ttmp6, 0x4000c
	s_and_b32 s6, ttmp6, 15
	s_add_co_i32 s3, s3, 1
	s_getreg_b32 s7, hwreg(HW_REG_IB_STS2, 6, 4)
	s_mul_i32 s3, ttmp9, s3
	s_delay_alu instid0(SALU_CYCLE_1) | instskip(SKIP_2) | instid1(SALU_CYCLE_1)
	s_add_co_i32 s6, s6, s3
	s_cmp_eq_u32 s7, 0
	s_cselect_b32 s12, ttmp9, s6
	s_ashr_i32 s13, s12, 31
	s_delay_alu instid0(SALU_CYCLE_1)
	s_lshl_b64 s[6:7], s[12:13], 2
	s_wait_kmcnt 0x0
	s_add_nc_u64 s[4:5], s[4:5], s[6:7]
	s_load_b64 s[18:19], s[4:5], 0x0
	s_wait_kmcnt 0x0
	s_cmp_lt_i32 s18, s19
	s_cbranch_scc1 .LBB10_7
; %bb.6:
	s_load_b64 s[10:11], s[0:1], 0x40
	v_mov_b32_e32 v1, 0
	s_cbranch_execz .LBB10_8
	s_branch .LBB10_12
.LBB10_7:
	s_load_b64 s[10:11], s[0:1], 0x40
	v_mov_b32_e32 v1, 0
.LBB10_8:
	s_clause 0x1
	s_load_b128 s[4:7], s[0:1], 0x18
	s_load_b64 s[16:17], s[0:1], 0x30
	v_mad_u32 v1, s18, 14, v0
	v_mul_u32_u24_e32 v2, 0x124a, v0
	s_wait_xcnt 0x0
	s_mul_i32 s0, s14, 14
	s_sub_co_i32 s1, s18, s14
	s_delay_alu instid0(VALU_DEP_1) | instskip(NEXT) | instid1(VALU_DEP_3)
	v_lshrrev_b32_e32 v2, 16, v2
	v_subrev_nc_u32_e32 v3, s0, v1
	v_mov_b32_e32 v1, 0
	s_sub_co_i32 s0, s19, s14
	s_branch .LBB10_10
.LBB10_9:                               ;   in Loop: Header=BB10_10 Depth=1
	s_or_b32 exec_lo, exec_lo, s3
	v_add_nc_u32_e32 v3, 56, v3
	s_add_co_i32 s1, s1, 4
	s_delay_alu instid0(SALU_CYCLE_1)
	s_cmp_ge_i32 s1, s0
	s_cbranch_scc1 .LBB10_12
.LBB10_10:                              ; =>This Inner Loop Header: Depth=1
	v_add_nc_u32_e32 v4, s1, v2
	s_mov_b32 s3, exec_lo
	s_delay_alu instid0(VALU_DEP_1)
	v_cmpx_gt_i32_e64 s0, v4
	s_cbranch_execz .LBB10_9
; %bb.11:                               ;   in Loop: Header=BB10_10 Depth=1
	s_wait_kmcnt 0x0
	global_load_b32 v4, v4, s[4:5] scale_offset
	s_wait_loadcnt 0x0
	v_subrev_nc_u32_e32 v4, s14, v4
	global_load_b32 v5, v3, s[6:7] scale_offset
	global_load_b32 v6, v4, s[16:17] scale_offset
	s_wait_loadcnt 0x0
	v_fmac_f32_e32 v1, v5, v6
	s_branch .LBB10_9
.LBB10_12:
	v_lshlrev_b32_e32 v2, 2, v0
	s_wait_xcnt 0x0
	s_mov_b32 s0, exec_lo
	ds_store_b32 v2, v1
	s_wait_dscnt 0x0
	s_barrier_signal -1
	s_barrier_wait -1
	v_cmpx_gt_u32_e32 28, v0
	s_cbranch_execz .LBB10_14
; %bb.13:
	ds_load_2addr_b32 v[4:5], v2 offset1:28
	s_wait_dscnt 0x0
	v_add_f32_e32 v1, v5, v4
	ds_store_b32 v2, v1
.LBB10_14:
	s_or_b32 exec_lo, exec_lo, s0
	v_cmp_gt_u32_e32 vcc_lo, 14, v0
	s_wait_dscnt 0x0
	s_barrier_signal -1
	s_barrier_wait -1
	s_and_saveexec_b32 s0, vcc_lo
	s_cbranch_execz .LBB10_16
; %bb.15:
	ds_load_2addr_b32 v[4:5], v2 offset1:14
	s_wait_dscnt 0x0
	v_add_f32_e32 v1, v5, v4
	ds_store_b32 v2, v1
.LBB10_16:
	s_or_b32 exec_lo, exec_lo, s0
	s_wait_dscnt 0x0
	s_barrier_signal -1
	s_barrier_wait -1
	s_and_saveexec_b32 s0, vcc_lo
	s_cbranch_execz .LBB10_20
; %bb.17:
	ds_load_b32 v1, v2
	v_mad_u32 v0, s12, 14, v0
	s_cmp_eq_f32 s2, 0
	s_mov_b32 s0, 0
	s_wait_dscnt 0x0
	v_mul_f32_e32 v1, s8, v1
	s_cbranch_scc0 .LBB10_21
; %bb.18:
	s_wait_kmcnt 0x0
	global_store_b32 v0, v1, s[10:11] scale_offset
	s_and_not1_b32 vcc_lo, exec_lo, s0
	s_cbranch_vccnz .LBB10_20
.LBB10_19:
	s_wait_kmcnt 0x0
	global_load_b32 v2, v0, s[10:11] scale_offset
	s_wait_loadcnt 0x0
	s_wait_xcnt 0x1
	v_fmac_f32_e32 v1, s2, v2
	global_store_b32 v0, v1, s[10:11] scale_offset
.LBB10_20:
	s_endpgm
.LBB10_21:
	s_branch .LBB10_19
	.section	.rodata,"a",@progbits
	.p2align	6, 0x0
	.amdhsa_kernel _ZN9rocsparseL22gebsrmvn_mxn_16_kernelILj56ELj14ELj1EfEEvi20rocsparse_direction_NS_24const_host_device_scalarIT2_EEPKiS6_PKS3_iiS8_S4_PS3_21rocsparse_index_base_b
		.amdhsa_group_segment_fixed_size 224
		.amdhsa_private_segment_fixed_size 0
		.amdhsa_kernarg_size 80
		.amdhsa_user_sgpr_count 2
		.amdhsa_user_sgpr_dispatch_ptr 0
		.amdhsa_user_sgpr_queue_ptr 0
		.amdhsa_user_sgpr_kernarg_segment_ptr 1
		.amdhsa_user_sgpr_dispatch_id 0
		.amdhsa_user_sgpr_kernarg_preload_length 0
		.amdhsa_user_sgpr_kernarg_preload_offset 0
		.amdhsa_user_sgpr_private_segment_size 0
		.amdhsa_wavefront_size32 1
		.amdhsa_uses_dynamic_stack 0
		.amdhsa_enable_private_segment 0
		.amdhsa_system_sgpr_workgroup_id_x 1
		.amdhsa_system_sgpr_workgroup_id_y 0
		.amdhsa_system_sgpr_workgroup_id_z 0
		.amdhsa_system_sgpr_workgroup_info 0
		.amdhsa_system_vgpr_workitem_id 0
		.amdhsa_next_free_vgpr 7
		.amdhsa_next_free_sgpr 20
		.amdhsa_named_barrier_count 0
		.amdhsa_reserve_vcc 1
		.amdhsa_float_round_mode_32 0
		.amdhsa_float_round_mode_16_64 0
		.amdhsa_float_denorm_mode_32 3
		.amdhsa_float_denorm_mode_16_64 3
		.amdhsa_fp16_overflow 0
		.amdhsa_memory_ordered 1
		.amdhsa_forward_progress 1
		.amdhsa_inst_pref_size 6
		.amdhsa_round_robin_scheduling 0
		.amdhsa_exception_fp_ieee_invalid_op 0
		.amdhsa_exception_fp_denorm_src 0
		.amdhsa_exception_fp_ieee_div_zero 0
		.amdhsa_exception_fp_ieee_overflow 0
		.amdhsa_exception_fp_ieee_underflow 0
		.amdhsa_exception_fp_ieee_inexact 0
		.amdhsa_exception_int_div_zero 0
	.end_amdhsa_kernel
	.section	.text._ZN9rocsparseL22gebsrmvn_mxn_16_kernelILj56ELj14ELj1EfEEvi20rocsparse_direction_NS_24const_host_device_scalarIT2_EEPKiS6_PKS3_iiS8_S4_PS3_21rocsparse_index_base_b,"axG",@progbits,_ZN9rocsparseL22gebsrmvn_mxn_16_kernelILj56ELj14ELj1EfEEvi20rocsparse_direction_NS_24const_host_device_scalarIT2_EEPKiS6_PKS3_iiS8_S4_PS3_21rocsparse_index_base_b,comdat
.Lfunc_end10:
	.size	_ZN9rocsparseL22gebsrmvn_mxn_16_kernelILj56ELj14ELj1EfEEvi20rocsparse_direction_NS_24const_host_device_scalarIT2_EEPKiS6_PKS3_iiS8_S4_PS3_21rocsparse_index_base_b, .Lfunc_end10-_ZN9rocsparseL22gebsrmvn_mxn_16_kernelILj56ELj14ELj1EfEEvi20rocsparse_direction_NS_24const_host_device_scalarIT2_EEPKiS6_PKS3_iiS8_S4_PS3_21rocsparse_index_base_b
                                        ; -- End function
	.set _ZN9rocsparseL22gebsrmvn_mxn_16_kernelILj56ELj14ELj1EfEEvi20rocsparse_direction_NS_24const_host_device_scalarIT2_EEPKiS6_PKS3_iiS8_S4_PS3_21rocsparse_index_base_b.num_vgpr, 7
	.set _ZN9rocsparseL22gebsrmvn_mxn_16_kernelILj56ELj14ELj1EfEEvi20rocsparse_direction_NS_24const_host_device_scalarIT2_EEPKiS6_PKS3_iiS8_S4_PS3_21rocsparse_index_base_b.num_agpr, 0
	.set _ZN9rocsparseL22gebsrmvn_mxn_16_kernelILj56ELj14ELj1EfEEvi20rocsparse_direction_NS_24const_host_device_scalarIT2_EEPKiS6_PKS3_iiS8_S4_PS3_21rocsparse_index_base_b.numbered_sgpr, 20
	.set _ZN9rocsparseL22gebsrmvn_mxn_16_kernelILj56ELj14ELj1EfEEvi20rocsparse_direction_NS_24const_host_device_scalarIT2_EEPKiS6_PKS3_iiS8_S4_PS3_21rocsparse_index_base_b.num_named_barrier, 0
	.set _ZN9rocsparseL22gebsrmvn_mxn_16_kernelILj56ELj14ELj1EfEEvi20rocsparse_direction_NS_24const_host_device_scalarIT2_EEPKiS6_PKS3_iiS8_S4_PS3_21rocsparse_index_base_b.private_seg_size, 0
	.set _ZN9rocsparseL22gebsrmvn_mxn_16_kernelILj56ELj14ELj1EfEEvi20rocsparse_direction_NS_24const_host_device_scalarIT2_EEPKiS6_PKS3_iiS8_S4_PS3_21rocsparse_index_base_b.uses_vcc, 1
	.set _ZN9rocsparseL22gebsrmvn_mxn_16_kernelILj56ELj14ELj1EfEEvi20rocsparse_direction_NS_24const_host_device_scalarIT2_EEPKiS6_PKS3_iiS8_S4_PS3_21rocsparse_index_base_b.uses_flat_scratch, 0
	.set _ZN9rocsparseL22gebsrmvn_mxn_16_kernelILj56ELj14ELj1EfEEvi20rocsparse_direction_NS_24const_host_device_scalarIT2_EEPKiS6_PKS3_iiS8_S4_PS3_21rocsparse_index_base_b.has_dyn_sized_stack, 0
	.set _ZN9rocsparseL22gebsrmvn_mxn_16_kernelILj56ELj14ELj1EfEEvi20rocsparse_direction_NS_24const_host_device_scalarIT2_EEPKiS6_PKS3_iiS8_S4_PS3_21rocsparse_index_base_b.has_recursion, 0
	.set _ZN9rocsparseL22gebsrmvn_mxn_16_kernelILj56ELj14ELj1EfEEvi20rocsparse_direction_NS_24const_host_device_scalarIT2_EEPKiS6_PKS3_iiS8_S4_PS3_21rocsparse_index_base_b.has_indirect_call, 0
	.section	.AMDGPU.csdata,"",@progbits
; Kernel info:
; codeLenInByte = 664
; TotalNumSgprs: 22
; NumVgprs: 7
; ScratchSize: 0
; MemoryBound: 0
; FloatMode: 240
; IeeeMode: 1
; LDSByteSize: 224 bytes/workgroup (compile time only)
; SGPRBlocks: 0
; VGPRBlocks: 0
; NumSGPRsForWavesPerEU: 22
; NumVGPRsForWavesPerEU: 7
; NamedBarCnt: 0
; Occupancy: 16
; WaveLimiterHint : 1
; COMPUTE_PGM_RSRC2:SCRATCH_EN: 0
; COMPUTE_PGM_RSRC2:USER_SGPR: 2
; COMPUTE_PGM_RSRC2:TRAP_HANDLER: 0
; COMPUTE_PGM_RSRC2:TGID_X_EN: 1
; COMPUTE_PGM_RSRC2:TGID_Y_EN: 0
; COMPUTE_PGM_RSRC2:TGID_Z_EN: 0
; COMPUTE_PGM_RSRC2:TIDIG_COMP_CNT: 0
	.section	.text._ZN9rocsparseL22gebsrmvn_mxn_16_kernelILj56ELj14ELj2EfEEvi20rocsparse_direction_NS_24const_host_device_scalarIT2_EEPKiS6_PKS3_iiS8_S4_PS3_21rocsparse_index_base_b,"axG",@progbits,_ZN9rocsparseL22gebsrmvn_mxn_16_kernelILj56ELj14ELj2EfEEvi20rocsparse_direction_NS_24const_host_device_scalarIT2_EEPKiS6_PKS3_iiS8_S4_PS3_21rocsparse_index_base_b,comdat
	.globl	_ZN9rocsparseL22gebsrmvn_mxn_16_kernelILj56ELj14ELj2EfEEvi20rocsparse_direction_NS_24const_host_device_scalarIT2_EEPKiS6_PKS3_iiS8_S4_PS3_21rocsparse_index_base_b ; -- Begin function _ZN9rocsparseL22gebsrmvn_mxn_16_kernelILj56ELj14ELj2EfEEvi20rocsparse_direction_NS_24const_host_device_scalarIT2_EEPKiS6_PKS3_iiS8_S4_PS3_21rocsparse_index_base_b
	.p2align	8
	.type	_ZN9rocsparseL22gebsrmvn_mxn_16_kernelILj56ELj14ELj2EfEEvi20rocsparse_direction_NS_24const_host_device_scalarIT2_EEPKiS6_PKS3_iiS8_S4_PS3_21rocsparse_index_base_b,@function
_ZN9rocsparseL22gebsrmvn_mxn_16_kernelILj56ELj14ELj2EfEEvi20rocsparse_direction_NS_24const_host_device_scalarIT2_EEPKiS6_PKS3_iiS8_S4_PS3_21rocsparse_index_base_b: ; @_ZN9rocsparseL22gebsrmvn_mxn_16_kernelILj56ELj14ELj2EfEEvi20rocsparse_direction_NS_24const_host_device_scalarIT2_EEPKiS6_PKS3_iiS8_S4_PS3_21rocsparse_index_base_b
; %bb.0:
	s_clause 0x2
	s_load_b64 s[14:15], s[0:1], 0x48
	s_load_b64 s[8:9], s[0:1], 0x8
	;; [unrolled: 1-line block ×3, first 2 shown]
	s_wait_kmcnt 0x0
	s_bitcmp1_b32 s15, 0
	s_cselect_b32 s4, -1, 0
	s_delay_alu instid0(SALU_CYCLE_1)
	s_and_b32 vcc_lo, exec_lo, s4
	s_xor_b32 s4, s4, -1
	s_cbranch_vccnz .LBB11_2
; %bb.1:
	s_load_b32 s8, s[8:9], 0x0
.LBB11_2:
	s_and_not1_b32 vcc_lo, exec_lo, s4
	s_cbranch_vccnz .LBB11_4
; %bb.3:
	s_load_b32 s2, s[2:3], 0x0
.LBB11_4:
	s_wait_kmcnt 0x0
	s_cmp_eq_f32 s8, 0
	s_cselect_b32 s3, -1, 0
	s_cmp_eq_f32 s2, 1.0
	s_cselect_b32 s4, -1, 0
	s_delay_alu instid0(SALU_CYCLE_1) | instskip(NEXT) | instid1(SALU_CYCLE_1)
	s_and_b32 s3, s3, s4
	s_and_b32 vcc_lo, exec_lo, s3
	s_cbranch_vccnz .LBB11_30
; %bb.5:
	s_clause 0x1
	s_load_b32 s3, s[0:1], 0x4
	s_load_b64 s[4:5], s[0:1], 0x10
	v_and_b32_e32 v2, 1, v0
	s_delay_alu instid0(VALU_DEP_1) | instskip(SKIP_3) | instid1(SALU_CYCLE_1)
	v_mov_b32_e32 v3, v2
	s_wait_kmcnt 0x0
	s_cmp_lg_u32 s3, 1
	s_cselect_b32 s3, -1, 0
	s_and_b32 vcc_lo, exec_lo, s3
	s_cbranch_vccnz .LBB11_7
; %bb.6:
	v_mul_u32_u24_e32 v1, 0x124a, v0
	s_delay_alu instid0(VALU_DEP_1)
	v_bfe_u32 v3, v1, 16, 1
.LBB11_7:
	s_bfe_u32 s6, ttmp6, 0x4000c
	s_and_b32 s7, ttmp6, 15
	s_add_co_i32 s6, s6, 1
	s_getreg_b32 s9, hwreg(HW_REG_IB_STS2, 6, 4)
	s_mul_i32 s6, ttmp9, s6
	v_mov_b32_e32 v1, 0
	s_add_co_i32 s7, s7, s6
	s_cmp_eq_u32 s9, 0
	s_cselect_b32 s12, ttmp9, s7
	s_delay_alu instid0(SALU_CYCLE_1) | instskip(NEXT) | instid1(SALU_CYCLE_1)
	s_ashr_i32 s13, s12, 31
	s_lshl_b64 s[6:7], s[12:13], 2
	s_delay_alu instid0(SALU_CYCLE_1)
	s_add_nc_u64 s[4:5], s[4:5], s[6:7]
	s_load_b64 s[18:19], s[4:5], 0x0
	s_load_b64 s[10:11], s[0:1], 0x40
	s_wait_kmcnt 0x0
	s_cmp_ge_i32 s18, s19
	s_cbranch_scc1 .LBB11_12
; %bb.8:
	s_clause 0x1
	s_load_b128 s[4:7], s[0:1], 0x18
	s_load_b64 s[16:17], s[0:1], 0x30
	v_mad_u32 v1, s18, 28, v0
	v_mul_u32_u24_e32 v4, 0x925, v0
	s_wait_xcnt 0x0
	s_mul_i32 s0, s14, 28
	s_sub_co_i32 s1, s18, s14
	s_delay_alu instid0(VALU_DEP_1) | instskip(NEXT) | instid1(VALU_DEP_3)
	v_lshrrev_b32_e32 v4, 16, v4
	v_subrev_nc_u32_e32 v5, s0, v1
	v_mov_b32_e32 v1, 0
	s_sub_co_i32 s0, s19, s14
	s_branch .LBB11_10
.LBB11_9:                               ;   in Loop: Header=BB11_10 Depth=1
	s_or_b32 exec_lo, exec_lo, s9
	v_add_nc_u32_e32 v5, 56, v5
	s_add_co_i32 s1, s1, 2
	s_delay_alu instid0(SALU_CYCLE_1)
	s_cmp_ge_i32 s1, s0
	s_cbranch_scc1 .LBB11_12
.LBB11_10:                              ; =>This Inner Loop Header: Depth=1
	v_add_nc_u32_e32 v6, s1, v4
	s_mov_b32 s9, exec_lo
	s_delay_alu instid0(VALU_DEP_1)
	v_cmpx_gt_i32_e64 s0, v6
	s_cbranch_execz .LBB11_9
; %bb.11:                               ;   in Loop: Header=BB11_10 Depth=1
	s_wait_kmcnt 0x0
	global_load_b32 v6, v6, s[4:5] scale_offset
	s_wait_loadcnt 0x0
	v_subrev_nc_u32_e32 v6, s14, v6
	s_delay_alu instid0(VALU_DEP_1)
	v_lshl_or_b32 v6, v6, 1, v3
	global_load_b32 v7, v5, s[6:7] scale_offset
	global_load_b32 v8, v6, s[16:17] scale_offset
	s_wait_loadcnt 0x0
	v_fmac_f32_e32 v1, v7, v8
	s_branch .LBB11_9
.LBB11_12:
	v_lshlrev_b32_e32 v3, 2, v0
	s_mov_b32 s0, exec_lo
	ds_store_b32 v3, v1
	s_wait_dscnt 0x0
	s_barrier_signal -1
	s_barrier_wait -1
	v_cmpx_gt_u32_e32 28, v0
	s_cbranch_execz .LBB11_14
; %bb.13:
	ds_load_2addr_b32 v[4:5], v3 offset1:28
	s_wait_dscnt 0x0
	v_add_f32_e32 v4, v5, v4
	ds_store_b32 v3, v4
.LBB11_14:
	s_or_b32 exec_lo, exec_lo, s0
	s_delay_alu instid0(SALU_CYCLE_1)
	s_and_b32 vcc_lo, exec_lo, s3
	s_wait_dscnt 0x0
	s_barrier_signal -1
	s_barrier_wait -1
	s_cbranch_vccz .LBB11_20
; %bb.15:
	s_mov_b32 s0, exec_lo
	v_cmpx_eq_u32_e32 0, v2
	s_cbranch_execz .LBB11_17
; %bb.16:
	ds_load_2addr_b32 v[4:5], v3 offset1:1
	s_wait_dscnt 0x0
	v_add_f32_e32 v2, v5, v4
	ds_store_b32 v3, v2
.LBB11_17:
	s_or_b32 exec_lo, exec_lo, s0
	v_mov_b32_e32 v2, v1
	s_mov_b32 s0, exec_lo
	s_wait_dscnt 0x0
	s_barrier_signal -1
	s_barrier_wait -1
	v_cmpx_gt_u32_e32 14, v0
; %bb.18:
	v_lshl_add_u32 v2, v0, 2, v3
	ds_load_b32 v2, v2
; %bb.19:
	s_or_b32 exec_lo, exec_lo, s0
	s_branch .LBB11_26
.LBB11_20:
                                        ; implicit-def: $vgpr2
	s_cbranch_execz .LBB11_26
; %bb.21:
	s_mov_b32 s0, exec_lo
	v_cmpx_lt_u32_e32 13, v0
	s_xor_b32 s0, exec_lo, s0
	s_cbranch_execz .LBB11_23
; %bb.22:
	s_wait_dscnt 0x0
                                        ; implicit-def: $vgpr3
.LBB11_23:
	s_and_not1_saveexec_b32 s0, s0
	s_cbranch_execz .LBB11_25
; %bb.24:
	ds_load_2addr_b32 v[4:5], v3 offset1:14
	s_wait_dscnt 0x0
	v_add_f32_e32 v1, v5, v4
	ds_store_b32 v3, v1
	s_wait_dscnt 0x0
	ds_load_b32 v1, v3
.LBB11_25:
	s_or_b32 exec_lo, exec_lo, s0
	s_wait_dscnt 0x0
	v_mov_b32_e32 v2, v1
.LBB11_26:
	s_mov_b32 s0, exec_lo
	v_cmpx_gt_u32_e32 14, v0
	s_cbranch_execz .LBB11_30
; %bb.27:
	v_mad_u32 v0, s12, 14, v0
	s_wait_dscnt 0x0
	v_mul_f32_e32 v1, s8, v2
	s_cmp_eq_f32 s2, 0
	s_mov_b32 s0, 0
	s_cbranch_scc0 .LBB11_31
; %bb.28:
	global_store_b32 v0, v1, s[10:11] scale_offset
	s_and_not1_b32 vcc_lo, exec_lo, s0
	s_cbranch_vccnz .LBB11_30
.LBB11_29:
	global_load_b32 v2, v0, s[10:11] scale_offset
	s_wait_loadcnt 0x0
	s_wait_xcnt 0x1
	v_fmac_f32_e32 v1, s2, v2
	global_store_b32 v0, v1, s[10:11] scale_offset
.LBB11_30:
	s_endpgm
.LBB11_31:
	s_branch .LBB11_29
	.section	.rodata,"a",@progbits
	.p2align	6, 0x0
	.amdhsa_kernel _ZN9rocsparseL22gebsrmvn_mxn_16_kernelILj56ELj14ELj2EfEEvi20rocsparse_direction_NS_24const_host_device_scalarIT2_EEPKiS6_PKS3_iiS8_S4_PS3_21rocsparse_index_base_b
		.amdhsa_group_segment_fixed_size 224
		.amdhsa_private_segment_fixed_size 0
		.amdhsa_kernarg_size 80
		.amdhsa_user_sgpr_count 2
		.amdhsa_user_sgpr_dispatch_ptr 0
		.amdhsa_user_sgpr_queue_ptr 0
		.amdhsa_user_sgpr_kernarg_segment_ptr 1
		.amdhsa_user_sgpr_dispatch_id 0
		.amdhsa_user_sgpr_kernarg_preload_length 0
		.amdhsa_user_sgpr_kernarg_preload_offset 0
		.amdhsa_user_sgpr_private_segment_size 0
		.amdhsa_wavefront_size32 1
		.amdhsa_uses_dynamic_stack 0
		.amdhsa_enable_private_segment 0
		.amdhsa_system_sgpr_workgroup_id_x 1
		.amdhsa_system_sgpr_workgroup_id_y 0
		.amdhsa_system_sgpr_workgroup_id_z 0
		.amdhsa_system_sgpr_workgroup_info 0
		.amdhsa_system_vgpr_workitem_id 0
		.amdhsa_next_free_vgpr 9
		.amdhsa_next_free_sgpr 20
		.amdhsa_named_barrier_count 0
		.amdhsa_reserve_vcc 1
		.amdhsa_float_round_mode_32 0
		.amdhsa_float_round_mode_16_64 0
		.amdhsa_float_denorm_mode_32 3
		.amdhsa_float_denorm_mode_16_64 3
		.amdhsa_fp16_overflow 0
		.amdhsa_memory_ordered 1
		.amdhsa_forward_progress 1
		.amdhsa_inst_pref_size 7
		.amdhsa_round_robin_scheduling 0
		.amdhsa_exception_fp_ieee_invalid_op 0
		.amdhsa_exception_fp_denorm_src 0
		.amdhsa_exception_fp_ieee_div_zero 0
		.amdhsa_exception_fp_ieee_overflow 0
		.amdhsa_exception_fp_ieee_underflow 0
		.amdhsa_exception_fp_ieee_inexact 0
		.amdhsa_exception_int_div_zero 0
	.end_amdhsa_kernel
	.section	.text._ZN9rocsparseL22gebsrmvn_mxn_16_kernelILj56ELj14ELj2EfEEvi20rocsparse_direction_NS_24const_host_device_scalarIT2_EEPKiS6_PKS3_iiS8_S4_PS3_21rocsparse_index_base_b,"axG",@progbits,_ZN9rocsparseL22gebsrmvn_mxn_16_kernelILj56ELj14ELj2EfEEvi20rocsparse_direction_NS_24const_host_device_scalarIT2_EEPKiS6_PKS3_iiS8_S4_PS3_21rocsparse_index_base_b,comdat
.Lfunc_end11:
	.size	_ZN9rocsparseL22gebsrmvn_mxn_16_kernelILj56ELj14ELj2EfEEvi20rocsparse_direction_NS_24const_host_device_scalarIT2_EEPKiS6_PKS3_iiS8_S4_PS3_21rocsparse_index_base_b, .Lfunc_end11-_ZN9rocsparseL22gebsrmvn_mxn_16_kernelILj56ELj14ELj2EfEEvi20rocsparse_direction_NS_24const_host_device_scalarIT2_EEPKiS6_PKS3_iiS8_S4_PS3_21rocsparse_index_base_b
                                        ; -- End function
	.set _ZN9rocsparseL22gebsrmvn_mxn_16_kernelILj56ELj14ELj2EfEEvi20rocsparse_direction_NS_24const_host_device_scalarIT2_EEPKiS6_PKS3_iiS8_S4_PS3_21rocsparse_index_base_b.num_vgpr, 9
	.set _ZN9rocsparseL22gebsrmvn_mxn_16_kernelILj56ELj14ELj2EfEEvi20rocsparse_direction_NS_24const_host_device_scalarIT2_EEPKiS6_PKS3_iiS8_S4_PS3_21rocsparse_index_base_b.num_agpr, 0
	.set _ZN9rocsparseL22gebsrmvn_mxn_16_kernelILj56ELj14ELj2EfEEvi20rocsparse_direction_NS_24const_host_device_scalarIT2_EEPKiS6_PKS3_iiS8_S4_PS3_21rocsparse_index_base_b.numbered_sgpr, 20
	.set _ZN9rocsparseL22gebsrmvn_mxn_16_kernelILj56ELj14ELj2EfEEvi20rocsparse_direction_NS_24const_host_device_scalarIT2_EEPKiS6_PKS3_iiS8_S4_PS3_21rocsparse_index_base_b.num_named_barrier, 0
	.set _ZN9rocsparseL22gebsrmvn_mxn_16_kernelILj56ELj14ELj2EfEEvi20rocsparse_direction_NS_24const_host_device_scalarIT2_EEPKiS6_PKS3_iiS8_S4_PS3_21rocsparse_index_base_b.private_seg_size, 0
	.set _ZN9rocsparseL22gebsrmvn_mxn_16_kernelILj56ELj14ELj2EfEEvi20rocsparse_direction_NS_24const_host_device_scalarIT2_EEPKiS6_PKS3_iiS8_S4_PS3_21rocsparse_index_base_b.uses_vcc, 1
	.set _ZN9rocsparseL22gebsrmvn_mxn_16_kernelILj56ELj14ELj2EfEEvi20rocsparse_direction_NS_24const_host_device_scalarIT2_EEPKiS6_PKS3_iiS8_S4_PS3_21rocsparse_index_base_b.uses_flat_scratch, 0
	.set _ZN9rocsparseL22gebsrmvn_mxn_16_kernelILj56ELj14ELj2EfEEvi20rocsparse_direction_NS_24const_host_device_scalarIT2_EEPKiS6_PKS3_iiS8_S4_PS3_21rocsparse_index_base_b.has_dyn_sized_stack, 0
	.set _ZN9rocsparseL22gebsrmvn_mxn_16_kernelILj56ELj14ELj2EfEEvi20rocsparse_direction_NS_24const_host_device_scalarIT2_EEPKiS6_PKS3_iiS8_S4_PS3_21rocsparse_index_base_b.has_recursion, 0
	.set _ZN9rocsparseL22gebsrmvn_mxn_16_kernelILj56ELj14ELj2EfEEvi20rocsparse_direction_NS_24const_host_device_scalarIT2_EEPKiS6_PKS3_iiS8_S4_PS3_21rocsparse_index_base_b.has_indirect_call, 0
	.section	.AMDGPU.csdata,"",@progbits
; Kernel info:
; codeLenInByte = 828
; TotalNumSgprs: 22
; NumVgprs: 9
; ScratchSize: 0
; MemoryBound: 0
; FloatMode: 240
; IeeeMode: 1
; LDSByteSize: 224 bytes/workgroup (compile time only)
; SGPRBlocks: 0
; VGPRBlocks: 0
; NumSGPRsForWavesPerEU: 22
; NumVGPRsForWavesPerEU: 9
; NamedBarCnt: 0
; Occupancy: 16
; WaveLimiterHint : 1
; COMPUTE_PGM_RSRC2:SCRATCH_EN: 0
; COMPUTE_PGM_RSRC2:USER_SGPR: 2
; COMPUTE_PGM_RSRC2:TRAP_HANDLER: 0
; COMPUTE_PGM_RSRC2:TGID_X_EN: 1
; COMPUTE_PGM_RSRC2:TGID_Y_EN: 0
; COMPUTE_PGM_RSRC2:TGID_Z_EN: 0
; COMPUTE_PGM_RSRC2:TIDIG_COMP_CNT: 0
	.section	.text._ZN9rocsparseL22gebsrmvn_mxn_16_kernelILj42ELj14ELj3EfEEvi20rocsparse_direction_NS_24const_host_device_scalarIT2_EEPKiS6_PKS3_iiS8_S4_PS3_21rocsparse_index_base_b,"axG",@progbits,_ZN9rocsparseL22gebsrmvn_mxn_16_kernelILj42ELj14ELj3EfEEvi20rocsparse_direction_NS_24const_host_device_scalarIT2_EEPKiS6_PKS3_iiS8_S4_PS3_21rocsparse_index_base_b,comdat
	.globl	_ZN9rocsparseL22gebsrmvn_mxn_16_kernelILj42ELj14ELj3EfEEvi20rocsparse_direction_NS_24const_host_device_scalarIT2_EEPKiS6_PKS3_iiS8_S4_PS3_21rocsparse_index_base_b ; -- Begin function _ZN9rocsparseL22gebsrmvn_mxn_16_kernelILj42ELj14ELj3EfEEvi20rocsparse_direction_NS_24const_host_device_scalarIT2_EEPKiS6_PKS3_iiS8_S4_PS3_21rocsparse_index_base_b
	.p2align	8
	.type	_ZN9rocsparseL22gebsrmvn_mxn_16_kernelILj42ELj14ELj3EfEEvi20rocsparse_direction_NS_24const_host_device_scalarIT2_EEPKiS6_PKS3_iiS8_S4_PS3_21rocsparse_index_base_b,@function
_ZN9rocsparseL22gebsrmvn_mxn_16_kernelILj42ELj14ELj3EfEEvi20rocsparse_direction_NS_24const_host_device_scalarIT2_EEPKiS6_PKS3_iiS8_S4_PS3_21rocsparse_index_base_b: ; @_ZN9rocsparseL22gebsrmvn_mxn_16_kernelILj42ELj14ELj3EfEEvi20rocsparse_direction_NS_24const_host_device_scalarIT2_EEPKiS6_PKS3_iiS8_S4_PS3_21rocsparse_index_base_b
; %bb.0:
	s_clause 0x2
	s_load_b64 s[14:15], s[0:1], 0x48
	s_load_b64 s[8:9], s[0:1], 0x8
	;; [unrolled: 1-line block ×3, first 2 shown]
	s_wait_kmcnt 0x0
	s_bitcmp1_b32 s15, 0
	s_cselect_b32 s4, -1, 0
	s_delay_alu instid0(SALU_CYCLE_1)
	s_and_b32 vcc_lo, exec_lo, s4
	s_xor_b32 s4, s4, -1
	s_cbranch_vccnz .LBB12_2
; %bb.1:
	s_load_b32 s8, s[8:9], 0x0
.LBB12_2:
	s_and_not1_b32 vcc_lo, exec_lo, s4
	s_cbranch_vccnz .LBB12_4
; %bb.3:
	s_load_b32 s2, s[2:3], 0x0
.LBB12_4:
	s_wait_kmcnt 0x0
	s_cmp_eq_f32 s8, 0
	s_cselect_b32 s3, -1, 0
	s_cmp_eq_f32 s2, 1.0
	s_cselect_b32 s4, -1, 0
	s_delay_alu instid0(SALU_CYCLE_1) | instskip(NEXT) | instid1(SALU_CYCLE_1)
	s_and_b32 s3, s3, s4
	s_and_b32 vcc_lo, exec_lo, s3
	s_cbranch_vccnz .LBB12_32
; %bb.5:
	v_mul_u32_u24_e32 v1, 0x5556, v0
	s_clause 0x1
	s_load_b32 s3, s[0:1], 0x4
	s_load_b64 s[4:5], s[0:1], 0x10
	v_and_b32_e32 v4, 0xffff, v0
	v_lshrrev_b32_e32 v1, 16, v1
	s_delay_alu instid0(VALU_DEP_1) | instskip(NEXT) | instid1(VALU_DEP_1)
	v_mul_lo_u16 v1, v1, 3
	v_sub_nc_u16 v1, v0, v1
	s_delay_alu instid0(VALU_DEP_1) | instskip(SKIP_3) | instid1(SALU_CYCLE_1)
	v_and_b32_e32 v3, 0xffff, v1
	s_wait_kmcnt 0x0
	s_cmp_lg_u32 s3, 1
	s_cselect_b32 s3, -1, 0
	s_and_b32 vcc_lo, exec_lo, s3
	v_mov_b32_e32 v2, v3
	s_cbranch_vccnz .LBB12_7
; %bb.6:
	v_mul_u32_u24_e32 v1, 0x124a, v4
	s_delay_alu instid0(VALU_DEP_1) | instskip(NEXT) | instid1(VALU_DEP_1)
	v_lshrrev_b32_e32 v1, 16, v1
	v_mul_lo_u16 v2, 0x56, v1
	s_delay_alu instid0(VALU_DEP_1) | instskip(NEXT) | instid1(VALU_DEP_1)
	v_lshrrev_b16 v2, 8, v2
	v_mul_lo_u16 v2, v2, 3
	s_delay_alu instid0(VALU_DEP_1) | instskip(NEXT) | instid1(VALU_DEP_1)
	v_sub_nc_u16 v1, v1, v2
	v_and_b32_e32 v2, 0xff, v1
.LBB12_7:
	s_bfe_u32 s6, ttmp6, 0x4000c
	s_and_b32 s7, ttmp6, 15
	s_add_co_i32 s6, s6, 1
	s_getreg_b32 s9, hwreg(HW_REG_IB_STS2, 6, 4)
	s_mul_i32 s6, ttmp9, s6
	v_mov_b32_e32 v1, 0
	s_add_co_i32 s7, s7, s6
	s_cmp_eq_u32 s9, 0
	s_cselect_b32 s12, ttmp9, s7
	s_delay_alu instid0(SALU_CYCLE_1) | instskip(NEXT) | instid1(SALU_CYCLE_1)
	s_ashr_i32 s13, s12, 31
	s_lshl_b64 s[6:7], s[12:13], 2
	s_delay_alu instid0(SALU_CYCLE_1)
	s_add_nc_u64 s[4:5], s[4:5], s[6:7]
	s_load_b64 s[18:19], s[4:5], 0x0
	s_load_b64 s[10:11], s[0:1], 0x40
	s_wait_kmcnt 0x0
	s_cmp_ge_i32 s18, s19
	s_cbranch_scc1 .LBB12_12
; %bb.8:
	s_clause 0x1
	s_load_b128 s[4:7], s[0:1], 0x18
	s_load_b64 s[16:17], s[0:1], 0x30
	v_mad_u32 v1, s18, 42, v0
	v_mul_u32_u24_e32 v4, 0x619, v4
	s_wait_xcnt 0x0
	s_mul_i32 s0, s14, 42
	s_sub_co_i32 s1, s18, s14
	s_delay_alu instid0(VALU_DEP_1) | instskip(NEXT) | instid1(VALU_DEP_3)
	v_lshrrev_b32_e32 v4, 16, v4
	v_subrev_nc_u32_e32 v5, s0, v1
	v_mov_b32_e32 v1, 0
	s_sub_co_i32 s0, s19, s14
	s_branch .LBB12_10
.LBB12_9:                               ;   in Loop: Header=BB12_10 Depth=1
	s_or_b32 exec_lo, exec_lo, s9
	v_add_nc_u32_e32 v5, 42, v5
	s_add_co_i32 s1, s1, 1
	s_delay_alu instid0(SALU_CYCLE_1)
	s_cmp_ge_i32 s1, s0
	s_cbranch_scc1 .LBB12_12
.LBB12_10:                              ; =>This Inner Loop Header: Depth=1
	v_add_nc_u32_e32 v6, s1, v4
	s_mov_b32 s9, exec_lo
	s_delay_alu instid0(VALU_DEP_1)
	v_cmpx_gt_i32_e64 s0, v6
	s_cbranch_execz .LBB12_9
; %bb.11:                               ;   in Loop: Header=BB12_10 Depth=1
	s_wait_kmcnt 0x0
	global_load_b32 v6, v6, s[4:5] scale_offset
	s_wait_loadcnt 0x0
	v_subrev_nc_u32_e32 v6, s14, v6
	s_delay_alu instid0(VALU_DEP_1)
	v_mad_u32 v6, v6, 3, v2
	global_load_b32 v7, v5, s[6:7] scale_offset
	global_load_b32 v8, v6, s[16:17] scale_offset
	s_wait_loadcnt 0x0
	v_fmac_f32_e32 v1, v7, v8
	s_branch .LBB12_9
.LBB12_12:
	v_lshlrev_b32_e32 v2, 2, v0
	s_and_b32 vcc_lo, exec_lo, s3
	ds_store_b32 v2, v1
	s_wait_dscnt 0x0
	s_barrier_signal -1
	s_barrier_wait -1
	s_cbranch_vccz .LBB12_20
; %bb.13:
	v_cmp_eq_u16_e32 vcc_lo, 0, v3
	s_and_saveexec_b32 s0, vcc_lo
	s_cbranch_execz .LBB12_15
; %bb.14:
	ds_load_2addr_b32 v[4:5], v2 offset1:2
	s_wait_dscnt 0x0
	v_add_f32_e32 v3, v5, v4
	ds_store_b32 v2, v3
.LBB12_15:
	s_or_b32 exec_lo, exec_lo, s0
	s_wait_dscnt 0x0
	s_barrier_signal -1
	s_barrier_wait -1
	s_and_saveexec_b32 s0, vcc_lo
	s_cbranch_execz .LBB12_17
; %bb.16:
	ds_load_2addr_b32 v[4:5], v2 offset1:1
	s_wait_dscnt 0x0
	v_add_f32_e32 v3, v5, v4
	ds_store_b32 v2, v3
.LBB12_17:
	s_or_b32 exec_lo, exec_lo, s0
	v_mov_b32_e32 v3, v1
	s_mov_b32 s0, exec_lo
	s_wait_dscnt 0x0
	s_barrier_signal -1
	s_barrier_wait -1
	v_cmpx_gt_u32_e32 14, v0
; %bb.18:
	v_lshl_add_u32 v3, v0, 3, v2
	ds_load_b32 v3, v3
; %bb.19:
	s_or_b32 exec_lo, exec_lo, s0
	v_cmp_gt_u32_e64 s0, 14, v0
	s_branch .LBB12_28
.LBB12_20:
                                        ; implicit-def: $vgpr3
	v_cmp_gt_u32_e64 s0, 14, v0
	s_cbranch_execz .LBB12_28
; %bb.21:
	v_cmp_lt_u32_e32 vcc_lo, 13, v0
	s_and_saveexec_b32 s1, s0
	s_cbranch_execz .LBB12_23
; %bb.22:
	ds_load_2addr_b32 v[4:5], v2 offset1:28
	s_wait_dscnt 0x0
	v_add_f32_e32 v3, v5, v4
	ds_store_b32 v2, v3
.LBB12_23:
	s_or_b32 exec_lo, exec_lo, s1
	s_wait_dscnt 0x0
	s_barrier_signal -1
	s_barrier_wait -1
	s_and_saveexec_b32 s0, vcc_lo
	s_delay_alu instid0(SALU_CYCLE_1)
	s_xor_b32 s0, exec_lo, s0
; %bb.24:
                                        ; implicit-def: $vgpr2
; %bb.25:
	s_delay_alu instid0(SALU_CYCLE_1)
	s_and_not1_saveexec_b32 s0, s0
	s_cbranch_execz .LBB12_27
; %bb.26:
	ds_load_2addr_b32 v[4:5], v2 offset1:14
	s_wait_dscnt 0x0
	v_add_f32_e32 v1, v5, v4
	ds_store_b32 v2, v1
	s_wait_dscnt 0x0
	ds_load_b32 v1, v2
.LBB12_27:
	s_or_b32 exec_lo, exec_lo, s0
	s_wait_dscnt 0x0
	v_mov_b32_e32 v3, v1
.LBB12_28:
	s_mov_b32 s0, exec_lo
	v_cmpx_gt_u32_e32 14, v0
	s_cbranch_execz .LBB12_32
; %bb.29:
	v_mad_u32 v0, s12, 14, v0
	s_wait_dscnt 0x0
	v_mul_f32_e32 v1, s8, v3
	s_cmp_eq_f32 s2, 0
	s_mov_b32 s0, 0
	s_cbranch_scc0 .LBB12_33
; %bb.30:
	global_store_b32 v0, v1, s[10:11] scale_offset
	s_and_not1_b32 vcc_lo, exec_lo, s0
	s_cbranch_vccnz .LBB12_32
.LBB12_31:
	global_load_b32 v2, v0, s[10:11] scale_offset
	s_wait_loadcnt 0x0
	s_wait_xcnt 0x1
	v_fmac_f32_e32 v1, s2, v2
	global_store_b32 v0, v1, s[10:11] scale_offset
.LBB12_32:
	s_endpgm
.LBB12_33:
	s_branch .LBB12_31
	.section	.rodata,"a",@progbits
	.p2align	6, 0x0
	.amdhsa_kernel _ZN9rocsparseL22gebsrmvn_mxn_16_kernelILj42ELj14ELj3EfEEvi20rocsparse_direction_NS_24const_host_device_scalarIT2_EEPKiS6_PKS3_iiS8_S4_PS3_21rocsparse_index_base_b
		.amdhsa_group_segment_fixed_size 168
		.amdhsa_private_segment_fixed_size 0
		.amdhsa_kernarg_size 80
		.amdhsa_user_sgpr_count 2
		.amdhsa_user_sgpr_dispatch_ptr 0
		.amdhsa_user_sgpr_queue_ptr 0
		.amdhsa_user_sgpr_kernarg_segment_ptr 1
		.amdhsa_user_sgpr_dispatch_id 0
		.amdhsa_user_sgpr_kernarg_preload_length 0
		.amdhsa_user_sgpr_kernarg_preload_offset 0
		.amdhsa_user_sgpr_private_segment_size 0
		.amdhsa_wavefront_size32 1
		.amdhsa_uses_dynamic_stack 0
		.amdhsa_enable_private_segment 0
		.amdhsa_system_sgpr_workgroup_id_x 1
		.amdhsa_system_sgpr_workgroup_id_y 0
		.amdhsa_system_sgpr_workgroup_id_z 0
		.amdhsa_system_sgpr_workgroup_info 0
		.amdhsa_system_vgpr_workitem_id 0
		.amdhsa_next_free_vgpr 9
		.amdhsa_next_free_sgpr 20
		.amdhsa_named_barrier_count 0
		.amdhsa_reserve_vcc 1
		.amdhsa_float_round_mode_32 0
		.amdhsa_float_round_mode_16_64 0
		.amdhsa_float_denorm_mode_32 3
		.amdhsa_float_denorm_mode_16_64 3
		.amdhsa_fp16_overflow 0
		.amdhsa_memory_ordered 1
		.amdhsa_forward_progress 1
		.amdhsa_inst_pref_size 8
		.amdhsa_round_robin_scheduling 0
		.amdhsa_exception_fp_ieee_invalid_op 0
		.amdhsa_exception_fp_denorm_src 0
		.amdhsa_exception_fp_ieee_div_zero 0
		.amdhsa_exception_fp_ieee_overflow 0
		.amdhsa_exception_fp_ieee_underflow 0
		.amdhsa_exception_fp_ieee_inexact 0
		.amdhsa_exception_int_div_zero 0
	.end_amdhsa_kernel
	.section	.text._ZN9rocsparseL22gebsrmvn_mxn_16_kernelILj42ELj14ELj3EfEEvi20rocsparse_direction_NS_24const_host_device_scalarIT2_EEPKiS6_PKS3_iiS8_S4_PS3_21rocsparse_index_base_b,"axG",@progbits,_ZN9rocsparseL22gebsrmvn_mxn_16_kernelILj42ELj14ELj3EfEEvi20rocsparse_direction_NS_24const_host_device_scalarIT2_EEPKiS6_PKS3_iiS8_S4_PS3_21rocsparse_index_base_b,comdat
.Lfunc_end12:
	.size	_ZN9rocsparseL22gebsrmvn_mxn_16_kernelILj42ELj14ELj3EfEEvi20rocsparse_direction_NS_24const_host_device_scalarIT2_EEPKiS6_PKS3_iiS8_S4_PS3_21rocsparse_index_base_b, .Lfunc_end12-_ZN9rocsparseL22gebsrmvn_mxn_16_kernelILj42ELj14ELj3EfEEvi20rocsparse_direction_NS_24const_host_device_scalarIT2_EEPKiS6_PKS3_iiS8_S4_PS3_21rocsparse_index_base_b
                                        ; -- End function
	.set _ZN9rocsparseL22gebsrmvn_mxn_16_kernelILj42ELj14ELj3EfEEvi20rocsparse_direction_NS_24const_host_device_scalarIT2_EEPKiS6_PKS3_iiS8_S4_PS3_21rocsparse_index_base_b.num_vgpr, 9
	.set _ZN9rocsparseL22gebsrmvn_mxn_16_kernelILj42ELj14ELj3EfEEvi20rocsparse_direction_NS_24const_host_device_scalarIT2_EEPKiS6_PKS3_iiS8_S4_PS3_21rocsparse_index_base_b.num_agpr, 0
	.set _ZN9rocsparseL22gebsrmvn_mxn_16_kernelILj42ELj14ELj3EfEEvi20rocsparse_direction_NS_24const_host_device_scalarIT2_EEPKiS6_PKS3_iiS8_S4_PS3_21rocsparse_index_base_b.numbered_sgpr, 20
	.set _ZN9rocsparseL22gebsrmvn_mxn_16_kernelILj42ELj14ELj3EfEEvi20rocsparse_direction_NS_24const_host_device_scalarIT2_EEPKiS6_PKS3_iiS8_S4_PS3_21rocsparse_index_base_b.num_named_barrier, 0
	.set _ZN9rocsparseL22gebsrmvn_mxn_16_kernelILj42ELj14ELj3EfEEvi20rocsparse_direction_NS_24const_host_device_scalarIT2_EEPKiS6_PKS3_iiS8_S4_PS3_21rocsparse_index_base_b.private_seg_size, 0
	.set _ZN9rocsparseL22gebsrmvn_mxn_16_kernelILj42ELj14ELj3EfEEvi20rocsparse_direction_NS_24const_host_device_scalarIT2_EEPKiS6_PKS3_iiS8_S4_PS3_21rocsparse_index_base_b.uses_vcc, 1
	.set _ZN9rocsparseL22gebsrmvn_mxn_16_kernelILj42ELj14ELj3EfEEvi20rocsparse_direction_NS_24const_host_device_scalarIT2_EEPKiS6_PKS3_iiS8_S4_PS3_21rocsparse_index_base_b.uses_flat_scratch, 0
	.set _ZN9rocsparseL22gebsrmvn_mxn_16_kernelILj42ELj14ELj3EfEEvi20rocsparse_direction_NS_24const_host_device_scalarIT2_EEPKiS6_PKS3_iiS8_S4_PS3_21rocsparse_index_base_b.has_dyn_sized_stack, 0
	.set _ZN9rocsparseL22gebsrmvn_mxn_16_kernelILj42ELj14ELj3EfEEvi20rocsparse_direction_NS_24const_host_device_scalarIT2_EEPKiS6_PKS3_iiS8_S4_PS3_21rocsparse_index_base_b.has_recursion, 0
	.set _ZN9rocsparseL22gebsrmvn_mxn_16_kernelILj42ELj14ELj3EfEEvi20rocsparse_direction_NS_24const_host_device_scalarIT2_EEPKiS6_PKS3_iiS8_S4_PS3_21rocsparse_index_base_b.has_indirect_call, 0
	.section	.AMDGPU.csdata,"",@progbits
; Kernel info:
; codeLenInByte = 976
; TotalNumSgprs: 22
; NumVgprs: 9
; ScratchSize: 0
; MemoryBound: 0
; FloatMode: 240
; IeeeMode: 1
; LDSByteSize: 168 bytes/workgroup (compile time only)
; SGPRBlocks: 0
; VGPRBlocks: 0
; NumSGPRsForWavesPerEU: 22
; NumVGPRsForWavesPerEU: 9
; NamedBarCnt: 0
; Occupancy: 16
; WaveLimiterHint : 1
; COMPUTE_PGM_RSRC2:SCRATCH_EN: 0
; COMPUTE_PGM_RSRC2:USER_SGPR: 2
; COMPUTE_PGM_RSRC2:TRAP_HANDLER: 0
; COMPUTE_PGM_RSRC2:TGID_X_EN: 1
; COMPUTE_PGM_RSRC2:TGID_Y_EN: 0
; COMPUTE_PGM_RSRC2:TGID_Z_EN: 0
; COMPUTE_PGM_RSRC2:TIDIG_COMP_CNT: 0
	.section	.text._ZN9rocsparseL22gebsrmvn_mxn_16_kernelILj56ELj14ELj4EfEEvi20rocsparse_direction_NS_24const_host_device_scalarIT2_EEPKiS6_PKS3_iiS8_S4_PS3_21rocsparse_index_base_b,"axG",@progbits,_ZN9rocsparseL22gebsrmvn_mxn_16_kernelILj56ELj14ELj4EfEEvi20rocsparse_direction_NS_24const_host_device_scalarIT2_EEPKiS6_PKS3_iiS8_S4_PS3_21rocsparse_index_base_b,comdat
	.globl	_ZN9rocsparseL22gebsrmvn_mxn_16_kernelILj56ELj14ELj4EfEEvi20rocsparse_direction_NS_24const_host_device_scalarIT2_EEPKiS6_PKS3_iiS8_S4_PS3_21rocsparse_index_base_b ; -- Begin function _ZN9rocsparseL22gebsrmvn_mxn_16_kernelILj56ELj14ELj4EfEEvi20rocsparse_direction_NS_24const_host_device_scalarIT2_EEPKiS6_PKS3_iiS8_S4_PS3_21rocsparse_index_base_b
	.p2align	8
	.type	_ZN9rocsparseL22gebsrmvn_mxn_16_kernelILj56ELj14ELj4EfEEvi20rocsparse_direction_NS_24const_host_device_scalarIT2_EEPKiS6_PKS3_iiS8_S4_PS3_21rocsparse_index_base_b,@function
_ZN9rocsparseL22gebsrmvn_mxn_16_kernelILj56ELj14ELj4EfEEvi20rocsparse_direction_NS_24const_host_device_scalarIT2_EEPKiS6_PKS3_iiS8_S4_PS3_21rocsparse_index_base_b: ; @_ZN9rocsparseL22gebsrmvn_mxn_16_kernelILj56ELj14ELj4EfEEvi20rocsparse_direction_NS_24const_host_device_scalarIT2_EEPKiS6_PKS3_iiS8_S4_PS3_21rocsparse_index_base_b
; %bb.0:
	s_clause 0x2
	s_load_b64 s[14:15], s[0:1], 0x48
	s_load_b64 s[8:9], s[0:1], 0x8
	s_load_b64 s[2:3], s[0:1], 0x38
	s_wait_kmcnt 0x0
	s_bitcmp1_b32 s15, 0
	s_cselect_b32 s4, -1, 0
	s_delay_alu instid0(SALU_CYCLE_1)
	s_and_b32 vcc_lo, exec_lo, s4
	s_xor_b32 s4, s4, -1
	s_cbranch_vccnz .LBB13_2
; %bb.1:
	s_load_b32 s8, s[8:9], 0x0
.LBB13_2:
	s_and_not1_b32 vcc_lo, exec_lo, s4
	s_cbranch_vccnz .LBB13_4
; %bb.3:
	s_load_b32 s2, s[2:3], 0x0
.LBB13_4:
	s_wait_kmcnt 0x0
	s_cmp_eq_f32 s8, 0
	s_cselect_b32 s3, -1, 0
	s_cmp_eq_f32 s2, 1.0
	s_cselect_b32 s4, -1, 0
	s_delay_alu instid0(SALU_CYCLE_1) | instskip(NEXT) | instid1(SALU_CYCLE_1)
	s_and_b32 s3, s3, s4
	s_and_b32 vcc_lo, exec_lo, s3
	s_cbranch_vccnz .LBB13_32
; %bb.5:
	s_clause 0x1
	s_load_b32 s3, s[0:1], 0x4
	s_load_b64 s[4:5], s[0:1], 0x10
	v_and_b32_e32 v2, 3, v0
	s_delay_alu instid0(VALU_DEP_1) | instskip(SKIP_3) | instid1(SALU_CYCLE_1)
	v_mov_b32_e32 v3, v2
	s_wait_kmcnt 0x0
	s_cmp_lg_u32 s3, 1
	s_cselect_b32 s3, -1, 0
	s_and_b32 vcc_lo, exec_lo, s3
	s_cbranch_vccnz .LBB13_7
; %bb.6:
	v_mul_u32_u24_e32 v1, 0x124a, v0
	s_delay_alu instid0(VALU_DEP_1)
	v_bfe_u32 v3, v1, 16, 2
.LBB13_7:
	s_bfe_u32 s6, ttmp6, 0x4000c
	s_and_b32 s7, ttmp6, 15
	s_add_co_i32 s6, s6, 1
	s_getreg_b32 s9, hwreg(HW_REG_IB_STS2, 6, 4)
	s_mul_i32 s6, ttmp9, s6
	v_mov_b32_e32 v1, 0
	s_add_co_i32 s7, s7, s6
	s_cmp_eq_u32 s9, 0
	s_cselect_b32 s12, ttmp9, s7
	s_delay_alu instid0(SALU_CYCLE_1) | instskip(NEXT) | instid1(SALU_CYCLE_1)
	s_ashr_i32 s13, s12, 31
	s_lshl_b64 s[6:7], s[12:13], 2
	s_delay_alu instid0(SALU_CYCLE_1)
	s_add_nc_u64 s[4:5], s[4:5], s[6:7]
	s_load_b64 s[18:19], s[4:5], 0x0
	s_load_b64 s[10:11], s[0:1], 0x40
	s_wait_kmcnt 0x0
	s_cmp_ge_i32 s18, s19
	s_cbranch_scc1 .LBB13_12
; %bb.8:
	s_clause 0x1
	s_load_b128 s[4:7], s[0:1], 0x18
	s_load_b64 s[16:17], s[0:1], 0x30
	v_mad_u32 v1, s18, 56, v0
	v_mul_u32_u24_e32 v4, 0x493, v0
	s_wait_xcnt 0x0
	s_mul_i32 s0, s14, 56
	s_sub_co_i32 s1, s18, s14
	s_delay_alu instid0(VALU_DEP_1) | instskip(NEXT) | instid1(VALU_DEP_3)
	v_lshrrev_b32_e32 v4, 16, v4
	v_subrev_nc_u32_e32 v5, s0, v1
	v_mov_b32_e32 v1, 0
	s_sub_co_i32 s0, s19, s14
	s_branch .LBB13_10
.LBB13_9:                               ;   in Loop: Header=BB13_10 Depth=1
	s_or_b32 exec_lo, exec_lo, s9
	v_add_nc_u32_e32 v5, 56, v5
	s_add_co_i32 s1, s1, 1
	s_delay_alu instid0(SALU_CYCLE_1)
	s_cmp_ge_i32 s1, s0
	s_cbranch_scc1 .LBB13_12
.LBB13_10:                              ; =>This Inner Loop Header: Depth=1
	v_add_nc_u32_e32 v6, s1, v4
	s_mov_b32 s9, exec_lo
	s_delay_alu instid0(VALU_DEP_1)
	v_cmpx_gt_i32_e64 s0, v6
	s_cbranch_execz .LBB13_9
; %bb.11:                               ;   in Loop: Header=BB13_10 Depth=1
	s_wait_kmcnt 0x0
	global_load_b32 v6, v6, s[4:5] scale_offset
	s_wait_loadcnt 0x0
	v_subrev_nc_u32_e32 v6, s14, v6
	s_delay_alu instid0(VALU_DEP_1)
	v_lshl_or_b32 v6, v6, 2, v3
	global_load_b32 v7, v5, s[6:7] scale_offset
	global_load_b32 v8, v6, s[16:17] scale_offset
	s_wait_loadcnt 0x0
	v_fmac_f32_e32 v1, v7, v8
	s_branch .LBB13_9
.LBB13_12:
	v_lshlrev_b32_e32 v3, 2, v0
	s_and_b32 vcc_lo, exec_lo, s3
	ds_store_b32 v3, v1
	s_wait_dscnt 0x0
	s_barrier_signal -1
	s_barrier_wait -1
	s_cbranch_vccz .LBB13_20
; %bb.13:
	s_mov_b32 s0, exec_lo
	v_cmpx_gt_u32_e32 2, v2
	s_cbranch_execz .LBB13_15
; %bb.14:
	ds_load_2addr_b32 v[4:5], v3 offset1:2
	s_wait_dscnt 0x0
	v_add_f32_e32 v4, v5, v4
	ds_store_b32 v3, v4
.LBB13_15:
	s_or_b32 exec_lo, exec_lo, s0
	s_delay_alu instid0(SALU_CYCLE_1)
	s_mov_b32 s0, exec_lo
	s_wait_dscnt 0x0
	s_barrier_signal -1
	s_barrier_wait -1
	v_cmpx_eq_u32_e32 0, v2
	s_cbranch_execz .LBB13_17
; %bb.16:
	ds_load_2addr_b32 v[4:5], v3 offset1:1
	s_wait_dscnt 0x0
	v_add_f32_e32 v2, v5, v4
	ds_store_b32 v3, v2
.LBB13_17:
	s_or_b32 exec_lo, exec_lo, s0
	v_mov_b32_e32 v2, v1
	s_mov_b32 s0, exec_lo
	s_wait_dscnt 0x0
	s_barrier_signal -1
	s_barrier_wait -1
	v_cmpx_gt_u32_e32 14, v0
; %bb.18:
	v_mad_u32_u24 v2, v0, 12, v3
	ds_load_b32 v2, v2
; %bb.19:
	s_or_b32 exec_lo, exec_lo, s0
	s_branch .LBB13_28
.LBB13_20:
                                        ; implicit-def: $vgpr2
	s_cbranch_execz .LBB13_28
; %bb.21:
	s_mov_b32 s0, exec_lo
	v_cmpx_gt_u32_e32 28, v0
	s_cbranch_execz .LBB13_23
; %bb.22:
	ds_load_2addr_b32 v[4:5], v3 offset1:28
	s_wait_dscnt 0x0
	v_add_f32_e32 v2, v5, v4
	ds_store_b32 v3, v2
.LBB13_23:
	s_or_b32 exec_lo, exec_lo, s0
	s_delay_alu instid0(SALU_CYCLE_1)
	s_mov_b32 s0, exec_lo
	s_wait_dscnt 0x0
	v_cmpx_lt_u32_e32 13, v0
	s_xor_b32 s0, exec_lo, s0
; %bb.24:
                                        ; implicit-def: $vgpr3
; %bb.25:
	s_delay_alu instid0(SALU_CYCLE_1)
	s_and_not1_saveexec_b32 s0, s0
	s_cbranch_execz .LBB13_27
; %bb.26:
	ds_load_2addr_b32 v[4:5], v3 offset1:14
	s_wait_dscnt 0x0
	v_add_f32_e32 v1, v5, v4
	ds_store_b32 v3, v1
	s_wait_dscnt 0x0
	ds_load_b32 v1, v3
.LBB13_27:
	s_or_b32 exec_lo, exec_lo, s0
	s_wait_dscnt 0x0
	v_mov_b32_e32 v2, v1
.LBB13_28:
	s_mov_b32 s0, exec_lo
	v_cmpx_gt_u32_e32 14, v0
	s_cbranch_execz .LBB13_32
; %bb.29:
	v_mad_u32 v0, s12, 14, v0
	s_wait_dscnt 0x0
	v_mul_f32_e32 v1, s8, v2
	s_cmp_eq_f32 s2, 0
	s_mov_b32 s0, 0
	s_cbranch_scc0 .LBB13_33
; %bb.30:
	global_store_b32 v0, v1, s[10:11] scale_offset
	s_and_not1_b32 vcc_lo, exec_lo, s0
	s_cbranch_vccnz .LBB13_32
.LBB13_31:
	global_load_b32 v2, v0, s[10:11] scale_offset
	s_wait_loadcnt 0x0
	s_wait_xcnt 0x1
	v_fmac_f32_e32 v1, s2, v2
	global_store_b32 v0, v1, s[10:11] scale_offset
.LBB13_32:
	s_endpgm
.LBB13_33:
	s_branch .LBB13_31
	.section	.rodata,"a",@progbits
	.p2align	6, 0x0
	.amdhsa_kernel _ZN9rocsparseL22gebsrmvn_mxn_16_kernelILj56ELj14ELj4EfEEvi20rocsparse_direction_NS_24const_host_device_scalarIT2_EEPKiS6_PKS3_iiS8_S4_PS3_21rocsparse_index_base_b
		.amdhsa_group_segment_fixed_size 224
		.amdhsa_private_segment_fixed_size 0
		.amdhsa_kernarg_size 80
		.amdhsa_user_sgpr_count 2
		.amdhsa_user_sgpr_dispatch_ptr 0
		.amdhsa_user_sgpr_queue_ptr 0
		.amdhsa_user_sgpr_kernarg_segment_ptr 1
		.amdhsa_user_sgpr_dispatch_id 0
		.amdhsa_user_sgpr_kernarg_preload_length 0
		.amdhsa_user_sgpr_kernarg_preload_offset 0
		.amdhsa_user_sgpr_private_segment_size 0
		.amdhsa_wavefront_size32 1
		.amdhsa_uses_dynamic_stack 0
		.amdhsa_enable_private_segment 0
		.amdhsa_system_sgpr_workgroup_id_x 1
		.amdhsa_system_sgpr_workgroup_id_y 0
		.amdhsa_system_sgpr_workgroup_id_z 0
		.amdhsa_system_sgpr_workgroup_info 0
		.amdhsa_system_vgpr_workitem_id 0
		.amdhsa_next_free_vgpr 9
		.amdhsa_next_free_sgpr 20
		.amdhsa_named_barrier_count 0
		.amdhsa_reserve_vcc 1
		.amdhsa_float_round_mode_32 0
		.amdhsa_float_round_mode_16_64 0
		.amdhsa_float_denorm_mode_32 3
		.amdhsa_float_denorm_mode_16_64 3
		.amdhsa_fp16_overflow 0
		.amdhsa_memory_ordered 1
		.amdhsa_forward_progress 1
		.amdhsa_inst_pref_size 7
		.amdhsa_round_robin_scheduling 0
		.amdhsa_exception_fp_ieee_invalid_op 0
		.amdhsa_exception_fp_denorm_src 0
		.amdhsa_exception_fp_ieee_div_zero 0
		.amdhsa_exception_fp_ieee_overflow 0
		.amdhsa_exception_fp_ieee_underflow 0
		.amdhsa_exception_fp_ieee_inexact 0
		.amdhsa_exception_int_div_zero 0
	.end_amdhsa_kernel
	.section	.text._ZN9rocsparseL22gebsrmvn_mxn_16_kernelILj56ELj14ELj4EfEEvi20rocsparse_direction_NS_24const_host_device_scalarIT2_EEPKiS6_PKS3_iiS8_S4_PS3_21rocsparse_index_base_b,"axG",@progbits,_ZN9rocsparseL22gebsrmvn_mxn_16_kernelILj56ELj14ELj4EfEEvi20rocsparse_direction_NS_24const_host_device_scalarIT2_EEPKiS6_PKS3_iiS8_S4_PS3_21rocsparse_index_base_b,comdat
.Lfunc_end13:
	.size	_ZN9rocsparseL22gebsrmvn_mxn_16_kernelILj56ELj14ELj4EfEEvi20rocsparse_direction_NS_24const_host_device_scalarIT2_EEPKiS6_PKS3_iiS8_S4_PS3_21rocsparse_index_base_b, .Lfunc_end13-_ZN9rocsparseL22gebsrmvn_mxn_16_kernelILj56ELj14ELj4EfEEvi20rocsparse_direction_NS_24const_host_device_scalarIT2_EEPKiS6_PKS3_iiS8_S4_PS3_21rocsparse_index_base_b
                                        ; -- End function
	.set _ZN9rocsparseL22gebsrmvn_mxn_16_kernelILj56ELj14ELj4EfEEvi20rocsparse_direction_NS_24const_host_device_scalarIT2_EEPKiS6_PKS3_iiS8_S4_PS3_21rocsparse_index_base_b.num_vgpr, 9
	.set _ZN9rocsparseL22gebsrmvn_mxn_16_kernelILj56ELj14ELj4EfEEvi20rocsparse_direction_NS_24const_host_device_scalarIT2_EEPKiS6_PKS3_iiS8_S4_PS3_21rocsparse_index_base_b.num_agpr, 0
	.set _ZN9rocsparseL22gebsrmvn_mxn_16_kernelILj56ELj14ELj4EfEEvi20rocsparse_direction_NS_24const_host_device_scalarIT2_EEPKiS6_PKS3_iiS8_S4_PS3_21rocsparse_index_base_b.numbered_sgpr, 20
	.set _ZN9rocsparseL22gebsrmvn_mxn_16_kernelILj56ELj14ELj4EfEEvi20rocsparse_direction_NS_24const_host_device_scalarIT2_EEPKiS6_PKS3_iiS8_S4_PS3_21rocsparse_index_base_b.num_named_barrier, 0
	.set _ZN9rocsparseL22gebsrmvn_mxn_16_kernelILj56ELj14ELj4EfEEvi20rocsparse_direction_NS_24const_host_device_scalarIT2_EEPKiS6_PKS3_iiS8_S4_PS3_21rocsparse_index_base_b.private_seg_size, 0
	.set _ZN9rocsparseL22gebsrmvn_mxn_16_kernelILj56ELj14ELj4EfEEvi20rocsparse_direction_NS_24const_host_device_scalarIT2_EEPKiS6_PKS3_iiS8_S4_PS3_21rocsparse_index_base_b.uses_vcc, 1
	.set _ZN9rocsparseL22gebsrmvn_mxn_16_kernelILj56ELj14ELj4EfEEvi20rocsparse_direction_NS_24const_host_device_scalarIT2_EEPKiS6_PKS3_iiS8_S4_PS3_21rocsparse_index_base_b.uses_flat_scratch, 0
	.set _ZN9rocsparseL22gebsrmvn_mxn_16_kernelILj56ELj14ELj4EfEEvi20rocsparse_direction_NS_24const_host_device_scalarIT2_EEPKiS6_PKS3_iiS8_S4_PS3_21rocsparse_index_base_b.has_dyn_sized_stack, 0
	.set _ZN9rocsparseL22gebsrmvn_mxn_16_kernelILj56ELj14ELj4EfEEvi20rocsparse_direction_NS_24const_host_device_scalarIT2_EEPKiS6_PKS3_iiS8_S4_PS3_21rocsparse_index_base_b.has_recursion, 0
	.set _ZN9rocsparseL22gebsrmvn_mxn_16_kernelILj56ELj14ELj4EfEEvi20rocsparse_direction_NS_24const_host_device_scalarIT2_EEPKiS6_PKS3_iiS8_S4_PS3_21rocsparse_index_base_b.has_indirect_call, 0
	.section	.AMDGPU.csdata,"",@progbits
; Kernel info:
; codeLenInByte = 872
; TotalNumSgprs: 22
; NumVgprs: 9
; ScratchSize: 0
; MemoryBound: 0
; FloatMode: 240
; IeeeMode: 1
; LDSByteSize: 224 bytes/workgroup (compile time only)
; SGPRBlocks: 0
; VGPRBlocks: 0
; NumSGPRsForWavesPerEU: 22
; NumVGPRsForWavesPerEU: 9
; NamedBarCnt: 0
; Occupancy: 16
; WaveLimiterHint : 1
; COMPUTE_PGM_RSRC2:SCRATCH_EN: 0
; COMPUTE_PGM_RSRC2:USER_SGPR: 2
; COMPUTE_PGM_RSRC2:TRAP_HANDLER: 0
; COMPUTE_PGM_RSRC2:TGID_X_EN: 1
; COMPUTE_PGM_RSRC2:TGID_Y_EN: 0
; COMPUTE_PGM_RSRC2:TGID_Z_EN: 0
; COMPUTE_PGM_RSRC2:TIDIG_COMP_CNT: 0
	.section	.text._ZN9rocsparseL22gebsrmvn_mxn_16_kernelILj70ELj14ELj5EfEEvi20rocsparse_direction_NS_24const_host_device_scalarIT2_EEPKiS6_PKS3_iiS8_S4_PS3_21rocsparse_index_base_b,"axG",@progbits,_ZN9rocsparseL22gebsrmvn_mxn_16_kernelILj70ELj14ELj5EfEEvi20rocsparse_direction_NS_24const_host_device_scalarIT2_EEPKiS6_PKS3_iiS8_S4_PS3_21rocsparse_index_base_b,comdat
	.globl	_ZN9rocsparseL22gebsrmvn_mxn_16_kernelILj70ELj14ELj5EfEEvi20rocsparse_direction_NS_24const_host_device_scalarIT2_EEPKiS6_PKS3_iiS8_S4_PS3_21rocsparse_index_base_b ; -- Begin function _ZN9rocsparseL22gebsrmvn_mxn_16_kernelILj70ELj14ELj5EfEEvi20rocsparse_direction_NS_24const_host_device_scalarIT2_EEPKiS6_PKS3_iiS8_S4_PS3_21rocsparse_index_base_b
	.p2align	8
	.type	_ZN9rocsparseL22gebsrmvn_mxn_16_kernelILj70ELj14ELj5EfEEvi20rocsparse_direction_NS_24const_host_device_scalarIT2_EEPKiS6_PKS3_iiS8_S4_PS3_21rocsparse_index_base_b,@function
_ZN9rocsparseL22gebsrmvn_mxn_16_kernelILj70ELj14ELj5EfEEvi20rocsparse_direction_NS_24const_host_device_scalarIT2_EEPKiS6_PKS3_iiS8_S4_PS3_21rocsparse_index_base_b: ; @_ZN9rocsparseL22gebsrmvn_mxn_16_kernelILj70ELj14ELj5EfEEvi20rocsparse_direction_NS_24const_host_device_scalarIT2_EEPKiS6_PKS3_iiS8_S4_PS3_21rocsparse_index_base_b
; %bb.0:
	s_clause 0x2
	s_load_b64 s[14:15], s[0:1], 0x48
	s_load_b64 s[8:9], s[0:1], 0x8
	;; [unrolled: 1-line block ×3, first 2 shown]
	s_wait_kmcnt 0x0
	s_bitcmp1_b32 s15, 0
	s_cselect_b32 s4, -1, 0
	s_delay_alu instid0(SALU_CYCLE_1)
	s_and_b32 vcc_lo, exec_lo, s4
	s_xor_b32 s4, s4, -1
	s_cbranch_vccnz .LBB14_2
; %bb.1:
	s_load_b32 s8, s[8:9], 0x0
.LBB14_2:
	s_and_not1_b32 vcc_lo, exec_lo, s4
	s_cbranch_vccnz .LBB14_4
; %bb.3:
	s_load_b32 s2, s[2:3], 0x0
.LBB14_4:
	s_wait_kmcnt 0x0
	s_cmp_eq_f32 s8, 0
	s_cselect_b32 s3, -1, 0
	s_cmp_eq_f32 s2, 1.0
	s_cselect_b32 s4, -1, 0
	s_delay_alu instid0(SALU_CYCLE_1) | instskip(NEXT) | instid1(SALU_CYCLE_1)
	s_and_b32 s3, s3, s4
	s_and_b32 vcc_lo, exec_lo, s3
	s_cbranch_vccnz .LBB14_36
; %bb.5:
	v_mul_u32_u24_e32 v1, 0x3334, v0
	s_clause 0x1
	s_load_b32 s3, s[0:1], 0x4
	s_load_b64 s[4:5], s[0:1], 0x10
	v_and_b32_e32 v4, 0xffff, v0
	v_lshrrev_b32_e32 v1, 16, v1
	s_delay_alu instid0(VALU_DEP_1) | instskip(NEXT) | instid1(VALU_DEP_1)
	v_mul_lo_u16 v1, v1, 5
	v_sub_nc_u16 v1, v0, v1
	s_delay_alu instid0(VALU_DEP_1) | instskip(SKIP_3) | instid1(SALU_CYCLE_1)
	v_and_b32_e32 v3, 0xffff, v1
	s_wait_kmcnt 0x0
	s_cmp_lg_u32 s3, 1
	s_cselect_b32 s3, -1, 0
	s_and_b32 vcc_lo, exec_lo, s3
	v_mov_b32_e32 v2, v3
	s_cbranch_vccnz .LBB14_7
; %bb.6:
	v_mul_u32_u24_e32 v1, 0x124a, v4
	s_delay_alu instid0(VALU_DEP_1) | instskip(NEXT) | instid1(VALU_DEP_1)
	v_lshrrev_b32_e32 v1, 16, v1
	v_mul_lo_u16 v2, v1, 52
	s_delay_alu instid0(VALU_DEP_1) | instskip(NEXT) | instid1(VALU_DEP_1)
	v_lshrrev_b16 v2, 8, v2
	v_mul_lo_u16 v2, v2, 5
	s_delay_alu instid0(VALU_DEP_1) | instskip(NEXT) | instid1(VALU_DEP_1)
	v_sub_nc_u16 v1, v1, v2
	v_and_b32_e32 v2, 0xff, v1
.LBB14_7:
	s_bfe_u32 s6, ttmp6, 0x4000c
	s_and_b32 s7, ttmp6, 15
	s_add_co_i32 s6, s6, 1
	s_getreg_b32 s9, hwreg(HW_REG_IB_STS2, 6, 4)
	s_mul_i32 s6, ttmp9, s6
	v_mov_b32_e32 v1, 0
	s_add_co_i32 s7, s7, s6
	s_cmp_eq_u32 s9, 0
	s_cselect_b32 s12, ttmp9, s7
	s_delay_alu instid0(SALU_CYCLE_1) | instskip(NEXT) | instid1(SALU_CYCLE_1)
	s_ashr_i32 s13, s12, 31
	s_lshl_b64 s[6:7], s[12:13], 2
	s_delay_alu instid0(SALU_CYCLE_1)
	s_add_nc_u64 s[4:5], s[4:5], s[6:7]
	s_load_b64 s[18:19], s[4:5], 0x0
	s_load_b64 s[10:11], s[0:1], 0x40
	s_wait_kmcnt 0x0
	s_cmp_ge_i32 s18, s19
	s_cbranch_scc1 .LBB14_12
; %bb.8:
	s_clause 0x1
	s_load_b128 s[4:7], s[0:1], 0x18
	s_load_b64 s[16:17], s[0:1], 0x30
	v_mad_u32 v1, 0x46, s18, v0
	v_mul_u32_u24_e32 v4, 0x3a9, v4
	s_wait_xcnt 0x0
	s_mul_i32 s0, s14, 0x46
	s_sub_co_i32 s1, s18, s14
	s_delay_alu instid0(VALU_DEP_1) | instskip(NEXT) | instid1(VALU_DEP_3)
	v_lshrrev_b32_e32 v4, 16, v4
	v_subrev_nc_u32_e32 v5, s0, v1
	v_mov_b32_e32 v1, 0
	s_sub_co_i32 s0, s19, s14
	s_branch .LBB14_10
.LBB14_9:                               ;   in Loop: Header=BB14_10 Depth=1
	s_or_b32 exec_lo, exec_lo, s9
	v_add_nc_u32_e32 v5, 0x46, v5
	s_add_co_i32 s1, s1, 1
	s_delay_alu instid0(SALU_CYCLE_1)
	s_cmp_ge_i32 s1, s0
	s_cbranch_scc1 .LBB14_12
.LBB14_10:                              ; =>This Inner Loop Header: Depth=1
	v_add_nc_u32_e32 v6, s1, v4
	s_mov_b32 s9, exec_lo
	s_delay_alu instid0(VALU_DEP_1)
	v_cmpx_gt_i32_e64 s0, v6
	s_cbranch_execz .LBB14_9
; %bb.11:                               ;   in Loop: Header=BB14_10 Depth=1
	s_wait_kmcnt 0x0
	global_load_b32 v6, v6, s[4:5] scale_offset
	s_wait_loadcnt 0x0
	v_subrev_nc_u32_e32 v6, s14, v6
	s_delay_alu instid0(VALU_DEP_1)
	v_mad_u32 v6, v6, 5, v2
	global_load_b32 v7, v5, s[6:7] scale_offset
	global_load_b32 v8, v6, s[16:17] scale_offset
	s_wait_loadcnt 0x0
	v_fmac_f32_e32 v1, v7, v8
	s_branch .LBB14_9
.LBB14_12:
	v_lshlrev_b32_e32 v2, 2, v0
	s_and_b32 vcc_lo, exec_lo, s3
	ds_store_b32 v2, v1
	s_wait_dscnt 0x0
	s_barrier_signal -1
	s_barrier_wait -1
	s_cbranch_vccz .LBB14_22
; %bb.13:
	v_cmp_eq_u16_e32 vcc_lo, 0, v3
	s_and_saveexec_b32 s0, vcc_lo
	s_cbranch_execz .LBB14_15
; %bb.14:
	ds_load_2addr_b32 v[4:5], v2 offset1:4
	s_wait_dscnt 0x0
	v_add_f32_e32 v4, v5, v4
	ds_store_b32 v2, v4
.LBB14_15:
	s_or_b32 exec_lo, exec_lo, s0
	s_delay_alu instid0(SALU_CYCLE_1)
	s_mov_b32 s1, exec_lo
	s_wait_dscnt 0x0
	s_barrier_signal -1
	s_barrier_wait -1
	v_cmpx_gt_u16_e32 2, v3
	s_cbranch_execz .LBB14_17
; %bb.16:
	ds_load_2addr_b32 v[4:5], v2 offset1:2
	s_wait_dscnt 0x0
	v_add_f32_e32 v3, v5, v4
	ds_store_b32 v2, v3
.LBB14_17:
	s_or_b32 exec_lo, exec_lo, s1
	s_wait_dscnt 0x0
	s_barrier_signal -1
	s_barrier_wait -1
	s_and_saveexec_b32 s0, vcc_lo
	s_cbranch_execz .LBB14_19
; %bb.18:
	ds_load_2addr_b32 v[4:5], v2 offset1:1
	s_wait_dscnt 0x0
	v_add_f32_e32 v3, v5, v4
	ds_store_b32 v2, v3
.LBB14_19:
	s_or_b32 exec_lo, exec_lo, s0
	v_mov_b32_e32 v3, v1
	s_mov_b32 s0, exec_lo
	s_wait_dscnt 0x0
	s_barrier_signal -1
	s_barrier_wait -1
	v_cmpx_gt_u32_e32 14, v0
; %bb.20:
	v_lshl_add_u32 v3, v0, 4, v2
	ds_load_b32 v3, v3
; %bb.21:
	s_or_b32 exec_lo, exec_lo, s0
	v_cmp_gt_u32_e64 s0, 14, v0
	s_branch .LBB14_32
.LBB14_22:
                                        ; implicit-def: $vgpr3
	v_cmp_gt_u32_e64 s0, 14, v0
	s_cbranch_execz .LBB14_32
; %bb.23:
	v_cmp_lt_u32_e32 vcc_lo, 13, v0
	s_and_saveexec_b32 s1, s0
	s_cbranch_execz .LBB14_25
; %bb.24:
	ds_load_2addr_b32 v[4:5], v2 offset1:56
	s_wait_dscnt 0x0
	v_add_f32_e32 v3, v5, v4
	ds_store_b32 v2, v3
.LBB14_25:
	s_or_b32 exec_lo, exec_lo, s1
	s_delay_alu instid0(SALU_CYCLE_1)
	s_mov_b32 s1, exec_lo
	s_wait_dscnt 0x0
	s_barrier_signal -1
	s_barrier_wait -1
	v_cmpx_gt_u32_e32 28, v0
	s_cbranch_execz .LBB14_27
; %bb.26:
	ds_load_2addr_b32 v[4:5], v2 offset1:28
	s_wait_dscnt 0x0
	v_add_f32_e32 v3, v5, v4
	ds_store_b32 v2, v3
.LBB14_27:
	s_or_b32 exec_lo, exec_lo, s1
	s_wait_dscnt 0x0
	s_and_saveexec_b32 s0, vcc_lo
	s_delay_alu instid0(SALU_CYCLE_1)
	s_xor_b32 s0, exec_lo, s0
; %bb.28:
                                        ; implicit-def: $vgpr2
; %bb.29:
	s_delay_alu instid0(SALU_CYCLE_1)
	s_and_not1_saveexec_b32 s0, s0
	s_cbranch_execz .LBB14_31
; %bb.30:
	ds_load_2addr_b32 v[4:5], v2 offset1:14
	s_wait_dscnt 0x0
	v_add_f32_e32 v1, v5, v4
	ds_store_b32 v2, v1
	s_wait_dscnt 0x0
	ds_load_b32 v1, v2
.LBB14_31:
	s_or_b32 exec_lo, exec_lo, s0
	s_wait_dscnt 0x0
	v_mov_b32_e32 v3, v1
.LBB14_32:
	s_mov_b32 s0, exec_lo
	v_cmpx_gt_u32_e32 14, v0
	s_cbranch_execz .LBB14_36
; %bb.33:
	v_mad_u32 v0, s12, 14, v0
	s_wait_dscnt 0x0
	v_mul_f32_e32 v1, s8, v3
	s_cmp_eq_f32 s2, 0
	s_mov_b32 s0, 0
	s_cbranch_scc0 .LBB14_37
; %bb.34:
	global_store_b32 v0, v1, s[10:11] scale_offset
	s_and_not1_b32 vcc_lo, exec_lo, s0
	s_cbranch_vccnz .LBB14_36
.LBB14_35:
	global_load_b32 v2, v0, s[10:11] scale_offset
	s_wait_loadcnt 0x0
	s_wait_xcnt 0x1
	v_fmac_f32_e32 v1, s2, v2
	global_store_b32 v0, v1, s[10:11] scale_offset
.LBB14_36:
	s_endpgm
.LBB14_37:
	s_branch .LBB14_35
	.section	.rodata,"a",@progbits
	.p2align	6, 0x0
	.amdhsa_kernel _ZN9rocsparseL22gebsrmvn_mxn_16_kernelILj70ELj14ELj5EfEEvi20rocsparse_direction_NS_24const_host_device_scalarIT2_EEPKiS6_PKS3_iiS8_S4_PS3_21rocsparse_index_base_b
		.amdhsa_group_segment_fixed_size 280
		.amdhsa_private_segment_fixed_size 0
		.amdhsa_kernarg_size 80
		.amdhsa_user_sgpr_count 2
		.amdhsa_user_sgpr_dispatch_ptr 0
		.amdhsa_user_sgpr_queue_ptr 0
		.amdhsa_user_sgpr_kernarg_segment_ptr 1
		.amdhsa_user_sgpr_dispatch_id 0
		.amdhsa_user_sgpr_kernarg_preload_length 0
		.amdhsa_user_sgpr_kernarg_preload_offset 0
		.amdhsa_user_sgpr_private_segment_size 0
		.amdhsa_wavefront_size32 1
		.amdhsa_uses_dynamic_stack 0
		.amdhsa_enable_private_segment 0
		.amdhsa_system_sgpr_workgroup_id_x 1
		.amdhsa_system_sgpr_workgroup_id_y 0
		.amdhsa_system_sgpr_workgroup_id_z 0
		.amdhsa_system_sgpr_workgroup_info 0
		.amdhsa_system_vgpr_workitem_id 0
		.amdhsa_next_free_vgpr 9
		.amdhsa_next_free_sgpr 20
		.amdhsa_named_barrier_count 0
		.amdhsa_reserve_vcc 1
		.amdhsa_float_round_mode_32 0
		.amdhsa_float_round_mode_16_64 0
		.amdhsa_float_denorm_mode_32 3
		.amdhsa_float_denorm_mode_16_64 3
		.amdhsa_fp16_overflow 0
		.amdhsa_memory_ordered 1
		.amdhsa_forward_progress 1
		.amdhsa_inst_pref_size 9
		.amdhsa_round_robin_scheduling 0
		.amdhsa_exception_fp_ieee_invalid_op 0
		.amdhsa_exception_fp_denorm_src 0
		.amdhsa_exception_fp_ieee_div_zero 0
		.amdhsa_exception_fp_ieee_overflow 0
		.amdhsa_exception_fp_ieee_underflow 0
		.amdhsa_exception_fp_ieee_inexact 0
		.amdhsa_exception_int_div_zero 0
	.end_amdhsa_kernel
	.section	.text._ZN9rocsparseL22gebsrmvn_mxn_16_kernelILj70ELj14ELj5EfEEvi20rocsparse_direction_NS_24const_host_device_scalarIT2_EEPKiS6_PKS3_iiS8_S4_PS3_21rocsparse_index_base_b,"axG",@progbits,_ZN9rocsparseL22gebsrmvn_mxn_16_kernelILj70ELj14ELj5EfEEvi20rocsparse_direction_NS_24const_host_device_scalarIT2_EEPKiS6_PKS3_iiS8_S4_PS3_21rocsparse_index_base_b,comdat
.Lfunc_end14:
	.size	_ZN9rocsparseL22gebsrmvn_mxn_16_kernelILj70ELj14ELj5EfEEvi20rocsparse_direction_NS_24const_host_device_scalarIT2_EEPKiS6_PKS3_iiS8_S4_PS3_21rocsparse_index_base_b, .Lfunc_end14-_ZN9rocsparseL22gebsrmvn_mxn_16_kernelILj70ELj14ELj5EfEEvi20rocsparse_direction_NS_24const_host_device_scalarIT2_EEPKiS6_PKS3_iiS8_S4_PS3_21rocsparse_index_base_b
                                        ; -- End function
	.set _ZN9rocsparseL22gebsrmvn_mxn_16_kernelILj70ELj14ELj5EfEEvi20rocsparse_direction_NS_24const_host_device_scalarIT2_EEPKiS6_PKS3_iiS8_S4_PS3_21rocsparse_index_base_b.num_vgpr, 9
	.set _ZN9rocsparseL22gebsrmvn_mxn_16_kernelILj70ELj14ELj5EfEEvi20rocsparse_direction_NS_24const_host_device_scalarIT2_EEPKiS6_PKS3_iiS8_S4_PS3_21rocsparse_index_base_b.num_agpr, 0
	.set _ZN9rocsparseL22gebsrmvn_mxn_16_kernelILj70ELj14ELj5EfEEvi20rocsparse_direction_NS_24const_host_device_scalarIT2_EEPKiS6_PKS3_iiS8_S4_PS3_21rocsparse_index_base_b.numbered_sgpr, 20
	.set _ZN9rocsparseL22gebsrmvn_mxn_16_kernelILj70ELj14ELj5EfEEvi20rocsparse_direction_NS_24const_host_device_scalarIT2_EEPKiS6_PKS3_iiS8_S4_PS3_21rocsparse_index_base_b.num_named_barrier, 0
	.set _ZN9rocsparseL22gebsrmvn_mxn_16_kernelILj70ELj14ELj5EfEEvi20rocsparse_direction_NS_24const_host_device_scalarIT2_EEPKiS6_PKS3_iiS8_S4_PS3_21rocsparse_index_base_b.private_seg_size, 0
	.set _ZN9rocsparseL22gebsrmvn_mxn_16_kernelILj70ELj14ELj5EfEEvi20rocsparse_direction_NS_24const_host_device_scalarIT2_EEPKiS6_PKS3_iiS8_S4_PS3_21rocsparse_index_base_b.uses_vcc, 1
	.set _ZN9rocsparseL22gebsrmvn_mxn_16_kernelILj70ELj14ELj5EfEEvi20rocsparse_direction_NS_24const_host_device_scalarIT2_EEPKiS6_PKS3_iiS8_S4_PS3_21rocsparse_index_base_b.uses_flat_scratch, 0
	.set _ZN9rocsparseL22gebsrmvn_mxn_16_kernelILj70ELj14ELj5EfEEvi20rocsparse_direction_NS_24const_host_device_scalarIT2_EEPKiS6_PKS3_iiS8_S4_PS3_21rocsparse_index_base_b.has_dyn_sized_stack, 0
	.set _ZN9rocsparseL22gebsrmvn_mxn_16_kernelILj70ELj14ELj5EfEEvi20rocsparse_direction_NS_24const_host_device_scalarIT2_EEPKiS6_PKS3_iiS8_S4_PS3_21rocsparse_index_base_b.has_recursion, 0
	.set _ZN9rocsparseL22gebsrmvn_mxn_16_kernelILj70ELj14ELj5EfEEvi20rocsparse_direction_NS_24const_host_device_scalarIT2_EEPKiS6_PKS3_iiS8_S4_PS3_21rocsparse_index_base_b.has_indirect_call, 0
	.section	.AMDGPU.csdata,"",@progbits
; Kernel info:
; codeLenInByte = 1088
; TotalNumSgprs: 22
; NumVgprs: 9
; ScratchSize: 0
; MemoryBound: 0
; FloatMode: 240
; IeeeMode: 1
; LDSByteSize: 280 bytes/workgroup (compile time only)
; SGPRBlocks: 0
; VGPRBlocks: 0
; NumSGPRsForWavesPerEU: 22
; NumVGPRsForWavesPerEU: 9
; NamedBarCnt: 0
; Occupancy: 16
; WaveLimiterHint : 1
; COMPUTE_PGM_RSRC2:SCRATCH_EN: 0
; COMPUTE_PGM_RSRC2:USER_SGPR: 2
; COMPUTE_PGM_RSRC2:TRAP_HANDLER: 0
; COMPUTE_PGM_RSRC2:TGID_X_EN: 1
; COMPUTE_PGM_RSRC2:TGID_Y_EN: 0
; COMPUTE_PGM_RSRC2:TGID_Z_EN: 0
; COMPUTE_PGM_RSRC2:TIDIG_COMP_CNT: 0
	.section	.text._ZN9rocsparseL22gebsrmvn_mxn_16_kernelILj84ELj14ELj6EfEEvi20rocsparse_direction_NS_24const_host_device_scalarIT2_EEPKiS6_PKS3_iiS8_S4_PS3_21rocsparse_index_base_b,"axG",@progbits,_ZN9rocsparseL22gebsrmvn_mxn_16_kernelILj84ELj14ELj6EfEEvi20rocsparse_direction_NS_24const_host_device_scalarIT2_EEPKiS6_PKS3_iiS8_S4_PS3_21rocsparse_index_base_b,comdat
	.globl	_ZN9rocsparseL22gebsrmvn_mxn_16_kernelILj84ELj14ELj6EfEEvi20rocsparse_direction_NS_24const_host_device_scalarIT2_EEPKiS6_PKS3_iiS8_S4_PS3_21rocsparse_index_base_b ; -- Begin function _ZN9rocsparseL22gebsrmvn_mxn_16_kernelILj84ELj14ELj6EfEEvi20rocsparse_direction_NS_24const_host_device_scalarIT2_EEPKiS6_PKS3_iiS8_S4_PS3_21rocsparse_index_base_b
	.p2align	8
	.type	_ZN9rocsparseL22gebsrmvn_mxn_16_kernelILj84ELj14ELj6EfEEvi20rocsparse_direction_NS_24const_host_device_scalarIT2_EEPKiS6_PKS3_iiS8_S4_PS3_21rocsparse_index_base_b,@function
_ZN9rocsparseL22gebsrmvn_mxn_16_kernelILj84ELj14ELj6EfEEvi20rocsparse_direction_NS_24const_host_device_scalarIT2_EEPKiS6_PKS3_iiS8_S4_PS3_21rocsparse_index_base_b: ; @_ZN9rocsparseL22gebsrmvn_mxn_16_kernelILj84ELj14ELj6EfEEvi20rocsparse_direction_NS_24const_host_device_scalarIT2_EEPKiS6_PKS3_iiS8_S4_PS3_21rocsparse_index_base_b
; %bb.0:
	s_clause 0x2
	s_load_b64 s[14:15], s[0:1], 0x48
	s_load_b64 s[8:9], s[0:1], 0x8
	;; [unrolled: 1-line block ×3, first 2 shown]
	s_wait_kmcnt 0x0
	s_bitcmp1_b32 s15, 0
	s_cselect_b32 s4, -1, 0
	s_delay_alu instid0(SALU_CYCLE_1)
	s_and_b32 vcc_lo, exec_lo, s4
	s_xor_b32 s4, s4, -1
	s_cbranch_vccnz .LBB15_2
; %bb.1:
	s_load_b32 s8, s[8:9], 0x0
.LBB15_2:
	s_and_not1_b32 vcc_lo, exec_lo, s4
	s_cbranch_vccnz .LBB15_4
; %bb.3:
	s_load_b32 s2, s[2:3], 0x0
.LBB15_4:
	s_wait_kmcnt 0x0
	s_cmp_eq_f32 s8, 0
	s_cselect_b32 s3, -1, 0
	s_cmp_eq_f32 s2, 1.0
	s_cselect_b32 s4, -1, 0
	s_delay_alu instid0(SALU_CYCLE_1) | instskip(NEXT) | instid1(SALU_CYCLE_1)
	s_and_b32 s3, s3, s4
	s_and_b32 vcc_lo, exec_lo, s3
	s_cbranch_vccnz .LBB15_36
; %bb.5:
	v_mul_u32_u24_e32 v1, 0x2aab, v0
	s_clause 0x1
	s_load_b32 s3, s[0:1], 0x4
	s_load_b64 s[4:5], s[0:1], 0x10
	v_and_b32_e32 v4, 0xffff, v0
	v_lshrrev_b32_e32 v1, 16, v1
	s_delay_alu instid0(VALU_DEP_1) | instskip(NEXT) | instid1(VALU_DEP_1)
	v_mul_lo_u16 v1, v1, 6
	v_sub_nc_u16 v1, v0, v1
	s_delay_alu instid0(VALU_DEP_1) | instskip(SKIP_3) | instid1(SALU_CYCLE_1)
	v_and_b32_e32 v3, 0xffff, v1
	s_wait_kmcnt 0x0
	s_cmp_lg_u32 s3, 1
	s_cselect_b32 s3, -1, 0
	s_and_b32 vcc_lo, exec_lo, s3
	v_mov_b32_e32 v2, v3
	s_cbranch_vccnz .LBB15_7
; %bb.6:
	v_mul_u32_u24_e32 v1, 0x124a, v4
	s_delay_alu instid0(VALU_DEP_1) | instskip(NEXT) | instid1(VALU_DEP_1)
	v_lshrrev_b32_e32 v1, 16, v1
	v_mul_lo_u16 v2, v1, 43
	s_delay_alu instid0(VALU_DEP_1) | instskip(NEXT) | instid1(VALU_DEP_1)
	v_lshrrev_b16 v2, 8, v2
	v_mul_lo_u16 v2, v2, 6
	s_delay_alu instid0(VALU_DEP_1) | instskip(NEXT) | instid1(VALU_DEP_1)
	v_sub_nc_u16 v1, v1, v2
	v_and_b32_e32 v2, 0xff, v1
.LBB15_7:
	s_bfe_u32 s6, ttmp6, 0x4000c
	s_and_b32 s7, ttmp6, 15
	s_add_co_i32 s6, s6, 1
	s_getreg_b32 s9, hwreg(HW_REG_IB_STS2, 6, 4)
	s_mul_i32 s6, ttmp9, s6
	v_mov_b32_e32 v1, 0
	s_add_co_i32 s7, s7, s6
	s_cmp_eq_u32 s9, 0
	s_cselect_b32 s12, ttmp9, s7
	s_delay_alu instid0(SALU_CYCLE_1) | instskip(NEXT) | instid1(SALU_CYCLE_1)
	s_ashr_i32 s13, s12, 31
	s_lshl_b64 s[6:7], s[12:13], 2
	s_delay_alu instid0(SALU_CYCLE_1)
	s_add_nc_u64 s[4:5], s[4:5], s[6:7]
	s_load_b64 s[18:19], s[4:5], 0x0
	s_load_b64 s[10:11], s[0:1], 0x40
	s_wait_kmcnt 0x0
	s_cmp_ge_i32 s18, s19
	s_cbranch_scc1 .LBB15_12
; %bb.8:
	s_clause 0x1
	s_load_b128 s[4:7], s[0:1], 0x18
	s_load_b64 s[16:17], s[0:1], 0x30
	v_mad_u32 v1, 0x54, s18, v0
	v_mul_u32_u24_e32 v4, 0x30d, v4
	s_wait_xcnt 0x0
	s_mul_i32 s0, s14, 0x54
	s_sub_co_i32 s1, s18, s14
	s_delay_alu instid0(VALU_DEP_1) | instskip(NEXT) | instid1(VALU_DEP_3)
	v_lshrrev_b32_e32 v4, 16, v4
	v_subrev_nc_u32_e32 v5, s0, v1
	v_mov_b32_e32 v1, 0
	s_sub_co_i32 s0, s19, s14
	s_branch .LBB15_10
.LBB15_9:                               ;   in Loop: Header=BB15_10 Depth=1
	s_or_b32 exec_lo, exec_lo, s9
	v_add_nc_u32_e32 v5, 0x54, v5
	s_add_co_i32 s1, s1, 1
	s_delay_alu instid0(SALU_CYCLE_1)
	s_cmp_ge_i32 s1, s0
	s_cbranch_scc1 .LBB15_12
.LBB15_10:                              ; =>This Inner Loop Header: Depth=1
	v_add_nc_u32_e32 v6, s1, v4
	s_mov_b32 s9, exec_lo
	s_delay_alu instid0(VALU_DEP_1)
	v_cmpx_gt_i32_e64 s0, v6
	s_cbranch_execz .LBB15_9
; %bb.11:                               ;   in Loop: Header=BB15_10 Depth=1
	s_wait_kmcnt 0x0
	global_load_b32 v6, v6, s[4:5] scale_offset
	s_wait_loadcnt 0x0
	v_subrev_nc_u32_e32 v6, s14, v6
	s_delay_alu instid0(VALU_DEP_1)
	v_mad_u32 v6, v6, 6, v2
	global_load_b32 v7, v5, s[6:7] scale_offset
	global_load_b32 v8, v6, s[16:17] scale_offset
	s_wait_loadcnt 0x0
	v_fmac_f32_e32 v1, v7, v8
	s_branch .LBB15_9
.LBB15_12:
	v_lshlrev_b32_e32 v2, 2, v0
	s_and_b32 vcc_lo, exec_lo, s3
	ds_store_b32 v2, v1
	s_wait_dscnt 0x0
	s_barrier_signal -1
	s_barrier_wait -1
	s_cbranch_vccz .LBB15_22
; %bb.13:
	v_cmp_gt_u16_e32 vcc_lo, 2, v3
	s_and_saveexec_b32 s0, vcc_lo
	s_cbranch_execz .LBB15_15
; %bb.14:
	ds_load_2addr_b32 v[4:5], v2 offset1:4
	s_wait_dscnt 0x0
	v_add_f32_e32 v4, v5, v4
	ds_store_b32 v2, v4
.LBB15_15:
	s_or_b32 exec_lo, exec_lo, s0
	s_wait_dscnt 0x0
	s_barrier_signal -1
	s_barrier_wait -1
	s_and_saveexec_b32 s0, vcc_lo
	s_cbranch_execz .LBB15_17
; %bb.16:
	ds_load_2addr_b32 v[4:5], v2 offset1:2
	s_wait_dscnt 0x0
	v_add_f32_e32 v4, v5, v4
	ds_store_b32 v2, v4
.LBB15_17:
	s_or_b32 exec_lo, exec_lo, s0
	s_delay_alu instid0(SALU_CYCLE_1)
	s_mov_b32 s0, exec_lo
	s_wait_dscnt 0x0
	s_barrier_signal -1
	s_barrier_wait -1
	v_cmpx_eq_u16_e32 0, v3
	s_cbranch_execz .LBB15_19
; %bb.18:
	ds_load_2addr_b32 v[4:5], v2 offset1:1
	s_wait_dscnt 0x0
	v_add_f32_e32 v3, v5, v4
	ds_store_b32 v2, v3
.LBB15_19:
	s_or_b32 exec_lo, exec_lo, s0
	v_mov_b32_e32 v3, v1
	s_mov_b32 s0, exec_lo
	s_wait_dscnt 0x0
	s_barrier_signal -1
	s_barrier_wait -1
	v_cmpx_gt_u32_e32 14, v0
; %bb.20:
	v_mad_u32_u24 v3, v0, 20, v2
	ds_load_b32 v3, v3
; %bb.21:
	s_or_b32 exec_lo, exec_lo, s0
	s_branch .LBB15_32
.LBB15_22:
                                        ; implicit-def: $vgpr3
	s_cbranch_execz .LBB15_32
; %bb.23:
	v_cmp_gt_u32_e32 vcc_lo, 28, v0
	s_and_saveexec_b32 s0, vcc_lo
	s_cbranch_execz .LBB15_25
; %bb.24:
	ds_load_2addr_b32 v[4:5], v2 offset1:56
	s_wait_dscnt 0x0
	v_add_f32_e32 v3, v5, v4
	ds_store_b32 v2, v3
.LBB15_25:
	s_or_b32 exec_lo, exec_lo, s0
	s_wait_dscnt 0x0
	s_barrier_signal -1
	s_barrier_wait -1
	s_and_saveexec_b32 s0, vcc_lo
	s_cbranch_execz .LBB15_27
; %bb.26:
	ds_load_2addr_b32 v[4:5], v2 offset1:28
	s_wait_dscnt 0x0
	v_add_f32_e32 v3, v5, v4
	ds_store_b32 v2, v3
.LBB15_27:
	s_or_b32 exec_lo, exec_lo, s0
	s_delay_alu instid0(SALU_CYCLE_1)
	s_mov_b32 s0, exec_lo
	s_wait_dscnt 0x0
	v_cmpx_lt_u32_e32 13, v0
	s_xor_b32 s0, exec_lo, s0
; %bb.28:
                                        ; implicit-def: $vgpr2
; %bb.29:
	s_delay_alu instid0(SALU_CYCLE_1)
	s_and_not1_saveexec_b32 s0, s0
	s_cbranch_execz .LBB15_31
; %bb.30:
	ds_load_2addr_b32 v[4:5], v2 offset1:14
	s_wait_dscnt 0x0
	v_add_f32_e32 v1, v5, v4
	ds_store_b32 v2, v1
	s_wait_dscnt 0x0
	ds_load_b32 v1, v2
.LBB15_31:
	s_or_b32 exec_lo, exec_lo, s0
	s_wait_dscnt 0x0
	v_mov_b32_e32 v3, v1
.LBB15_32:
	s_mov_b32 s0, exec_lo
	v_cmpx_gt_u32_e32 14, v0
	s_cbranch_execz .LBB15_36
; %bb.33:
	v_mad_u32 v0, s12, 14, v0
	s_wait_dscnt 0x0
	v_mul_f32_e32 v1, s8, v3
	s_cmp_eq_f32 s2, 0
	s_mov_b32 s0, 0
	s_cbranch_scc0 .LBB15_37
; %bb.34:
	global_store_b32 v0, v1, s[10:11] scale_offset
	s_and_not1_b32 vcc_lo, exec_lo, s0
	s_cbranch_vccnz .LBB15_36
.LBB15_35:
	global_load_b32 v2, v0, s[10:11] scale_offset
	s_wait_loadcnt 0x0
	s_wait_xcnt 0x1
	v_fmac_f32_e32 v1, s2, v2
	global_store_b32 v0, v1, s[10:11] scale_offset
.LBB15_36:
	s_endpgm
.LBB15_37:
	s_branch .LBB15_35
	.section	.rodata,"a",@progbits
	.p2align	6, 0x0
	.amdhsa_kernel _ZN9rocsparseL22gebsrmvn_mxn_16_kernelILj84ELj14ELj6EfEEvi20rocsparse_direction_NS_24const_host_device_scalarIT2_EEPKiS6_PKS3_iiS8_S4_PS3_21rocsparse_index_base_b
		.amdhsa_group_segment_fixed_size 336
		.amdhsa_private_segment_fixed_size 0
		.amdhsa_kernarg_size 80
		.amdhsa_user_sgpr_count 2
		.amdhsa_user_sgpr_dispatch_ptr 0
		.amdhsa_user_sgpr_queue_ptr 0
		.amdhsa_user_sgpr_kernarg_segment_ptr 1
		.amdhsa_user_sgpr_dispatch_id 0
		.amdhsa_user_sgpr_kernarg_preload_length 0
		.amdhsa_user_sgpr_kernarg_preload_offset 0
		.amdhsa_user_sgpr_private_segment_size 0
		.amdhsa_wavefront_size32 1
		.amdhsa_uses_dynamic_stack 0
		.amdhsa_enable_private_segment 0
		.amdhsa_system_sgpr_workgroup_id_x 1
		.amdhsa_system_sgpr_workgroup_id_y 0
		.amdhsa_system_sgpr_workgroup_id_z 0
		.amdhsa_system_sgpr_workgroup_info 0
		.amdhsa_system_vgpr_workitem_id 0
		.amdhsa_next_free_vgpr 9
		.amdhsa_next_free_sgpr 20
		.amdhsa_named_barrier_count 0
		.amdhsa_reserve_vcc 1
		.amdhsa_float_round_mode_32 0
		.amdhsa_float_round_mode_16_64 0
		.amdhsa_float_denorm_mode_32 3
		.amdhsa_float_denorm_mode_16_64 3
		.amdhsa_fp16_overflow 0
		.amdhsa_memory_ordered 1
		.amdhsa_forward_progress 1
		.amdhsa_inst_pref_size 9
		.amdhsa_round_robin_scheduling 0
		.amdhsa_exception_fp_ieee_invalid_op 0
		.amdhsa_exception_fp_denorm_src 0
		.amdhsa_exception_fp_ieee_div_zero 0
		.amdhsa_exception_fp_ieee_overflow 0
		.amdhsa_exception_fp_ieee_underflow 0
		.amdhsa_exception_fp_ieee_inexact 0
		.amdhsa_exception_int_div_zero 0
	.end_amdhsa_kernel
	.section	.text._ZN9rocsparseL22gebsrmvn_mxn_16_kernelILj84ELj14ELj6EfEEvi20rocsparse_direction_NS_24const_host_device_scalarIT2_EEPKiS6_PKS3_iiS8_S4_PS3_21rocsparse_index_base_b,"axG",@progbits,_ZN9rocsparseL22gebsrmvn_mxn_16_kernelILj84ELj14ELj6EfEEvi20rocsparse_direction_NS_24const_host_device_scalarIT2_EEPKiS6_PKS3_iiS8_S4_PS3_21rocsparse_index_base_b,comdat
.Lfunc_end15:
	.size	_ZN9rocsparseL22gebsrmvn_mxn_16_kernelILj84ELj14ELj6EfEEvi20rocsparse_direction_NS_24const_host_device_scalarIT2_EEPKiS6_PKS3_iiS8_S4_PS3_21rocsparse_index_base_b, .Lfunc_end15-_ZN9rocsparseL22gebsrmvn_mxn_16_kernelILj84ELj14ELj6EfEEvi20rocsparse_direction_NS_24const_host_device_scalarIT2_EEPKiS6_PKS3_iiS8_S4_PS3_21rocsparse_index_base_b
                                        ; -- End function
	.set _ZN9rocsparseL22gebsrmvn_mxn_16_kernelILj84ELj14ELj6EfEEvi20rocsparse_direction_NS_24const_host_device_scalarIT2_EEPKiS6_PKS3_iiS8_S4_PS3_21rocsparse_index_base_b.num_vgpr, 9
	.set _ZN9rocsparseL22gebsrmvn_mxn_16_kernelILj84ELj14ELj6EfEEvi20rocsparse_direction_NS_24const_host_device_scalarIT2_EEPKiS6_PKS3_iiS8_S4_PS3_21rocsparse_index_base_b.num_agpr, 0
	.set _ZN9rocsparseL22gebsrmvn_mxn_16_kernelILj84ELj14ELj6EfEEvi20rocsparse_direction_NS_24const_host_device_scalarIT2_EEPKiS6_PKS3_iiS8_S4_PS3_21rocsparse_index_base_b.numbered_sgpr, 20
	.set _ZN9rocsparseL22gebsrmvn_mxn_16_kernelILj84ELj14ELj6EfEEvi20rocsparse_direction_NS_24const_host_device_scalarIT2_EEPKiS6_PKS3_iiS8_S4_PS3_21rocsparse_index_base_b.num_named_barrier, 0
	.set _ZN9rocsparseL22gebsrmvn_mxn_16_kernelILj84ELj14ELj6EfEEvi20rocsparse_direction_NS_24const_host_device_scalarIT2_EEPKiS6_PKS3_iiS8_S4_PS3_21rocsparse_index_base_b.private_seg_size, 0
	.set _ZN9rocsparseL22gebsrmvn_mxn_16_kernelILj84ELj14ELj6EfEEvi20rocsparse_direction_NS_24const_host_device_scalarIT2_EEPKiS6_PKS3_iiS8_S4_PS3_21rocsparse_index_base_b.uses_vcc, 1
	.set _ZN9rocsparseL22gebsrmvn_mxn_16_kernelILj84ELj14ELj6EfEEvi20rocsparse_direction_NS_24const_host_device_scalarIT2_EEPKiS6_PKS3_iiS8_S4_PS3_21rocsparse_index_base_b.uses_flat_scratch, 0
	.set _ZN9rocsparseL22gebsrmvn_mxn_16_kernelILj84ELj14ELj6EfEEvi20rocsparse_direction_NS_24const_host_device_scalarIT2_EEPKiS6_PKS3_iiS8_S4_PS3_21rocsparse_index_base_b.has_dyn_sized_stack, 0
	.set _ZN9rocsparseL22gebsrmvn_mxn_16_kernelILj84ELj14ELj6EfEEvi20rocsparse_direction_NS_24const_host_device_scalarIT2_EEPKiS6_PKS3_iiS8_S4_PS3_21rocsparse_index_base_b.has_recursion, 0
	.set _ZN9rocsparseL22gebsrmvn_mxn_16_kernelILj84ELj14ELj6EfEEvi20rocsparse_direction_NS_24const_host_device_scalarIT2_EEPKiS6_PKS3_iiS8_S4_PS3_21rocsparse_index_base_b.has_indirect_call, 0
	.section	.AMDGPU.csdata,"",@progbits
; Kernel info:
; codeLenInByte = 1068
; TotalNumSgprs: 22
; NumVgprs: 9
; ScratchSize: 0
; MemoryBound: 0
; FloatMode: 240
; IeeeMode: 1
; LDSByteSize: 336 bytes/workgroup (compile time only)
; SGPRBlocks: 0
; VGPRBlocks: 0
; NumSGPRsForWavesPerEU: 22
; NumVGPRsForWavesPerEU: 9
; NamedBarCnt: 0
; Occupancy: 16
; WaveLimiterHint : 1
; COMPUTE_PGM_RSRC2:SCRATCH_EN: 0
; COMPUTE_PGM_RSRC2:USER_SGPR: 2
; COMPUTE_PGM_RSRC2:TRAP_HANDLER: 0
; COMPUTE_PGM_RSRC2:TGID_X_EN: 1
; COMPUTE_PGM_RSRC2:TGID_Y_EN: 0
; COMPUTE_PGM_RSRC2:TGID_Z_EN: 0
; COMPUTE_PGM_RSRC2:TIDIG_COMP_CNT: 0
	.section	.text._ZN9rocsparseL22gebsrmvn_mxn_16_kernelILj98ELj14ELj7EfEEvi20rocsparse_direction_NS_24const_host_device_scalarIT2_EEPKiS6_PKS3_iiS8_S4_PS3_21rocsparse_index_base_b,"axG",@progbits,_ZN9rocsparseL22gebsrmvn_mxn_16_kernelILj98ELj14ELj7EfEEvi20rocsparse_direction_NS_24const_host_device_scalarIT2_EEPKiS6_PKS3_iiS8_S4_PS3_21rocsparse_index_base_b,comdat
	.globl	_ZN9rocsparseL22gebsrmvn_mxn_16_kernelILj98ELj14ELj7EfEEvi20rocsparse_direction_NS_24const_host_device_scalarIT2_EEPKiS6_PKS3_iiS8_S4_PS3_21rocsparse_index_base_b ; -- Begin function _ZN9rocsparseL22gebsrmvn_mxn_16_kernelILj98ELj14ELj7EfEEvi20rocsparse_direction_NS_24const_host_device_scalarIT2_EEPKiS6_PKS3_iiS8_S4_PS3_21rocsparse_index_base_b
	.p2align	8
	.type	_ZN9rocsparseL22gebsrmvn_mxn_16_kernelILj98ELj14ELj7EfEEvi20rocsparse_direction_NS_24const_host_device_scalarIT2_EEPKiS6_PKS3_iiS8_S4_PS3_21rocsparse_index_base_b,@function
_ZN9rocsparseL22gebsrmvn_mxn_16_kernelILj98ELj14ELj7EfEEvi20rocsparse_direction_NS_24const_host_device_scalarIT2_EEPKiS6_PKS3_iiS8_S4_PS3_21rocsparse_index_base_b: ; @_ZN9rocsparseL22gebsrmvn_mxn_16_kernelILj98ELj14ELj7EfEEvi20rocsparse_direction_NS_24const_host_device_scalarIT2_EEPKiS6_PKS3_iiS8_S4_PS3_21rocsparse_index_base_b
; %bb.0:
	s_clause 0x2
	s_load_b64 s[14:15], s[0:1], 0x48
	s_load_b64 s[8:9], s[0:1], 0x8
	;; [unrolled: 1-line block ×3, first 2 shown]
	s_wait_kmcnt 0x0
	s_bitcmp1_b32 s15, 0
	s_cselect_b32 s4, -1, 0
	s_delay_alu instid0(SALU_CYCLE_1)
	s_and_b32 vcc_lo, exec_lo, s4
	s_xor_b32 s4, s4, -1
	s_cbranch_vccnz .LBB16_2
; %bb.1:
	s_load_b32 s8, s[8:9], 0x0
.LBB16_2:
	s_and_not1_b32 vcc_lo, exec_lo, s4
	s_cbranch_vccnz .LBB16_4
; %bb.3:
	s_load_b32 s2, s[2:3], 0x0
.LBB16_4:
	s_wait_kmcnt 0x0
	s_cmp_eq_f32 s8, 0
	s_cselect_b32 s3, -1, 0
	s_cmp_eq_f32 s2, 1.0
	s_cselect_b32 s4, -1, 0
	s_delay_alu instid0(SALU_CYCLE_1) | instskip(NEXT) | instid1(SALU_CYCLE_1)
	s_and_b32 s3, s3, s4
	s_and_b32 vcc_lo, exec_lo, s3
	s_cbranch_vccnz .LBB16_36
; %bb.5:
	v_mul_u32_u24_e32 v1, 0x2493, v0
	s_clause 0x1
	s_load_b32 s3, s[0:1], 0x4
	s_load_b64 s[4:5], s[0:1], 0x10
	v_and_b32_e32 v4, 0xffff, v0
	v_lshrrev_b32_e32 v1, 16, v1
	s_delay_alu instid0(VALU_DEP_1) | instskip(NEXT) | instid1(VALU_DEP_1)
	v_mul_lo_u16 v1, v1, 7
	v_sub_nc_u16 v1, v0, v1
	s_delay_alu instid0(VALU_DEP_1) | instskip(SKIP_3) | instid1(SALU_CYCLE_1)
	v_and_b32_e32 v3, 0xffff, v1
	s_wait_kmcnt 0x0
	s_cmp_lg_u32 s3, 1
	s_cselect_b32 s3, -1, 0
	s_and_b32 vcc_lo, exec_lo, s3
	v_mov_b32_e32 v2, v3
	s_cbranch_vccnz .LBB16_7
; %bb.6:
	v_mul_u32_u24_e32 v1, 0x124a, v4
	s_delay_alu instid0(VALU_DEP_1) | instskip(NEXT) | instid1(VALU_DEP_1)
	v_lshrrev_b32_e32 v1, 16, v1
	v_mul_lo_u16 v2, v1, 37
	s_delay_alu instid0(VALU_DEP_1) | instskip(NEXT) | instid1(VALU_DEP_1)
	v_lshrrev_b16 v2, 8, v2
	v_mul_lo_u16 v2, v2, 7
	s_delay_alu instid0(VALU_DEP_1) | instskip(NEXT) | instid1(VALU_DEP_1)
	v_sub_nc_u16 v1, v1, v2
	v_and_b32_e32 v2, 0xff, v1
.LBB16_7:
	s_bfe_u32 s6, ttmp6, 0x4000c
	s_and_b32 s7, ttmp6, 15
	s_add_co_i32 s6, s6, 1
	s_getreg_b32 s9, hwreg(HW_REG_IB_STS2, 6, 4)
	s_mul_i32 s6, ttmp9, s6
	v_mov_b32_e32 v1, 0
	s_add_co_i32 s7, s7, s6
	s_cmp_eq_u32 s9, 0
	s_cselect_b32 s12, ttmp9, s7
	s_delay_alu instid0(SALU_CYCLE_1) | instskip(NEXT) | instid1(SALU_CYCLE_1)
	s_ashr_i32 s13, s12, 31
	s_lshl_b64 s[6:7], s[12:13], 2
	s_delay_alu instid0(SALU_CYCLE_1)
	s_add_nc_u64 s[4:5], s[4:5], s[6:7]
	s_load_b64 s[18:19], s[4:5], 0x0
	s_load_b64 s[10:11], s[0:1], 0x40
	s_wait_kmcnt 0x0
	s_cmp_ge_i32 s18, s19
	s_cbranch_scc1 .LBB16_12
; %bb.8:
	s_clause 0x1
	s_load_b128 s[4:7], s[0:1], 0x18
	s_load_b64 s[16:17], s[0:1], 0x30
	v_mad_u32 v1, 0x62, s18, v0
	v_mul_u32_u24_e32 v4, 0x29d, v4
	s_wait_xcnt 0x0
	s_mul_i32 s0, s14, 0x62
	s_sub_co_i32 s1, s18, s14
	s_delay_alu instid0(VALU_DEP_1) | instskip(NEXT) | instid1(VALU_DEP_3)
	v_lshrrev_b32_e32 v4, 16, v4
	v_subrev_nc_u32_e32 v5, s0, v1
	v_mov_b32_e32 v1, 0
	s_sub_co_i32 s0, s19, s14
	s_branch .LBB16_10
.LBB16_9:                               ;   in Loop: Header=BB16_10 Depth=1
	s_or_b32 exec_lo, exec_lo, s9
	v_add_nc_u32_e32 v5, 0x62, v5
	s_add_co_i32 s1, s1, 1
	s_delay_alu instid0(SALU_CYCLE_1)
	s_cmp_ge_i32 s1, s0
	s_cbranch_scc1 .LBB16_12
.LBB16_10:                              ; =>This Inner Loop Header: Depth=1
	v_add_nc_u32_e32 v6, s1, v4
	s_mov_b32 s9, exec_lo
	s_delay_alu instid0(VALU_DEP_1)
	v_cmpx_gt_i32_e64 s0, v6
	s_cbranch_execz .LBB16_9
; %bb.11:                               ;   in Loop: Header=BB16_10 Depth=1
	s_wait_kmcnt 0x0
	global_load_b32 v6, v6, s[4:5] scale_offset
	s_wait_loadcnt 0x0
	v_subrev_nc_u32_e32 v6, s14, v6
	s_delay_alu instid0(VALU_DEP_1)
	v_mad_u32 v6, v6, 7, v2
	global_load_b32 v7, v5, s[6:7] scale_offset
	global_load_b32 v8, v6, s[16:17] scale_offset
	s_wait_loadcnt 0x0
	v_fmac_f32_e32 v1, v7, v8
	s_branch .LBB16_9
.LBB16_12:
	v_lshlrev_b32_e32 v2, 2, v0
	s_and_b32 vcc_lo, exec_lo, s3
	ds_store_b32 v2, v1
	s_wait_dscnt 0x0
	s_barrier_signal -1
	s_barrier_wait -1
	s_cbranch_vccz .LBB16_22
; %bb.13:
	s_mov_b32 s0, exec_lo
	v_cmpx_gt_u16_e32 3, v3
	s_cbranch_execz .LBB16_15
; %bb.14:
	ds_load_2addr_b32 v[4:5], v2 offset1:4
	s_wait_dscnt 0x0
	v_add_f32_e32 v4, v5, v4
	ds_store_b32 v2, v4
.LBB16_15:
	s_or_b32 exec_lo, exec_lo, s0
	s_delay_alu instid0(SALU_CYCLE_1)
	s_mov_b32 s0, exec_lo
	s_wait_dscnt 0x0
	s_barrier_signal -1
	s_barrier_wait -1
	v_cmpx_gt_u16_e32 2, v3
	s_cbranch_execz .LBB16_17
; %bb.16:
	ds_load_2addr_b32 v[4:5], v2 offset1:2
	s_wait_dscnt 0x0
	v_add_f32_e32 v4, v5, v4
	ds_store_b32 v2, v4
.LBB16_17:
	s_or_b32 exec_lo, exec_lo, s0
	s_delay_alu instid0(SALU_CYCLE_1)
	s_mov_b32 s0, exec_lo
	s_wait_dscnt 0x0
	s_barrier_signal -1
	s_barrier_wait -1
	v_cmpx_eq_u16_e32 0, v3
	s_cbranch_execz .LBB16_19
; %bb.18:
	ds_load_2addr_b32 v[4:5], v2 offset1:1
	s_wait_dscnt 0x0
	v_add_f32_e32 v3, v5, v4
	ds_store_b32 v2, v3
.LBB16_19:
	s_or_b32 exec_lo, exec_lo, s0
	v_mov_b32_e32 v3, v1
	s_mov_b32 s0, exec_lo
	s_wait_dscnt 0x0
	s_barrier_signal -1
	s_barrier_wait -1
	v_cmpx_gt_u32_e32 14, v0
; %bb.20:
	v_mad_u32_u24 v3, v0, 24, v2
	ds_load_b32 v3, v3
; %bb.21:
	s_or_b32 exec_lo, exec_lo, s0
	s_branch .LBB16_32
.LBB16_22:
                                        ; implicit-def: $vgpr3
	s_cbranch_execz .LBB16_32
; %bb.23:
	s_mov_b32 s0, exec_lo
	v_cmpx_gt_u32_e32 42, v0
	s_cbranch_execz .LBB16_25
; %bb.24:
	ds_load_2addr_b32 v[4:5], v2 offset1:56
	s_wait_dscnt 0x0
	v_add_f32_e32 v3, v5, v4
	ds_store_b32 v2, v3
.LBB16_25:
	s_or_b32 exec_lo, exec_lo, s0
	s_delay_alu instid0(SALU_CYCLE_1)
	s_mov_b32 s0, exec_lo
	s_wait_dscnt 0x0
	s_barrier_signal -1
	s_barrier_wait -1
	v_cmpx_gt_u32_e32 28, v0
	s_cbranch_execz .LBB16_27
; %bb.26:
	ds_load_2addr_b32 v[4:5], v2 offset1:28
	s_wait_dscnt 0x0
	v_add_f32_e32 v3, v5, v4
	ds_store_b32 v2, v3
.LBB16_27:
	s_or_b32 exec_lo, exec_lo, s0
	s_delay_alu instid0(SALU_CYCLE_1)
	s_mov_b32 s0, exec_lo
	s_wait_dscnt 0x0
	v_cmpx_lt_u32_e32 13, v0
	s_xor_b32 s0, exec_lo, s0
; %bb.28:
                                        ; implicit-def: $vgpr2
; %bb.29:
	s_delay_alu instid0(SALU_CYCLE_1)
	s_and_not1_saveexec_b32 s0, s0
	s_cbranch_execz .LBB16_31
; %bb.30:
	ds_load_2addr_b32 v[4:5], v2 offset1:14
	s_wait_dscnt 0x0
	v_add_f32_e32 v1, v5, v4
	ds_store_b32 v2, v1
	s_wait_dscnt 0x0
	ds_load_b32 v1, v2
.LBB16_31:
	s_or_b32 exec_lo, exec_lo, s0
	s_wait_dscnt 0x0
	v_mov_b32_e32 v3, v1
.LBB16_32:
	s_mov_b32 s0, exec_lo
	v_cmpx_gt_u32_e32 14, v0
	s_cbranch_execz .LBB16_36
; %bb.33:
	v_mad_u32 v0, s12, 14, v0
	s_wait_dscnt 0x0
	v_mul_f32_e32 v1, s8, v3
	s_cmp_eq_f32 s2, 0
	s_mov_b32 s0, 0
	s_cbranch_scc0 .LBB16_37
; %bb.34:
	global_store_b32 v0, v1, s[10:11] scale_offset
	s_and_not1_b32 vcc_lo, exec_lo, s0
	s_cbranch_vccnz .LBB16_36
.LBB16_35:
	global_load_b32 v2, v0, s[10:11] scale_offset
	s_wait_loadcnt 0x0
	s_wait_xcnt 0x1
	v_fmac_f32_e32 v1, s2, v2
	global_store_b32 v0, v1, s[10:11] scale_offset
.LBB16_36:
	s_endpgm
.LBB16_37:
	s_branch .LBB16_35
	.section	.rodata,"a",@progbits
	.p2align	6, 0x0
	.amdhsa_kernel _ZN9rocsparseL22gebsrmvn_mxn_16_kernelILj98ELj14ELj7EfEEvi20rocsparse_direction_NS_24const_host_device_scalarIT2_EEPKiS6_PKS3_iiS8_S4_PS3_21rocsparse_index_base_b
		.amdhsa_group_segment_fixed_size 392
		.amdhsa_private_segment_fixed_size 0
		.amdhsa_kernarg_size 80
		.amdhsa_user_sgpr_count 2
		.amdhsa_user_sgpr_dispatch_ptr 0
		.amdhsa_user_sgpr_queue_ptr 0
		.amdhsa_user_sgpr_kernarg_segment_ptr 1
		.amdhsa_user_sgpr_dispatch_id 0
		.amdhsa_user_sgpr_kernarg_preload_length 0
		.amdhsa_user_sgpr_kernarg_preload_offset 0
		.amdhsa_user_sgpr_private_segment_size 0
		.amdhsa_wavefront_size32 1
		.amdhsa_uses_dynamic_stack 0
		.amdhsa_enable_private_segment 0
		.amdhsa_system_sgpr_workgroup_id_x 1
		.amdhsa_system_sgpr_workgroup_id_y 0
		.amdhsa_system_sgpr_workgroup_id_z 0
		.amdhsa_system_sgpr_workgroup_info 0
		.amdhsa_system_vgpr_workitem_id 0
		.amdhsa_next_free_vgpr 9
		.amdhsa_next_free_sgpr 20
		.amdhsa_named_barrier_count 0
		.amdhsa_reserve_vcc 1
		.amdhsa_float_round_mode_32 0
		.amdhsa_float_round_mode_16_64 0
		.amdhsa_float_denorm_mode_32 3
		.amdhsa_float_denorm_mode_16_64 3
		.amdhsa_fp16_overflow 0
		.amdhsa_memory_ordered 1
		.amdhsa_forward_progress 1
		.amdhsa_inst_pref_size 9
		.amdhsa_round_robin_scheduling 0
		.amdhsa_exception_fp_ieee_invalid_op 0
		.amdhsa_exception_fp_denorm_src 0
		.amdhsa_exception_fp_ieee_div_zero 0
		.amdhsa_exception_fp_ieee_overflow 0
		.amdhsa_exception_fp_ieee_underflow 0
		.amdhsa_exception_fp_ieee_inexact 0
		.amdhsa_exception_int_div_zero 0
	.end_amdhsa_kernel
	.section	.text._ZN9rocsparseL22gebsrmvn_mxn_16_kernelILj98ELj14ELj7EfEEvi20rocsparse_direction_NS_24const_host_device_scalarIT2_EEPKiS6_PKS3_iiS8_S4_PS3_21rocsparse_index_base_b,"axG",@progbits,_ZN9rocsparseL22gebsrmvn_mxn_16_kernelILj98ELj14ELj7EfEEvi20rocsparse_direction_NS_24const_host_device_scalarIT2_EEPKiS6_PKS3_iiS8_S4_PS3_21rocsparse_index_base_b,comdat
.Lfunc_end16:
	.size	_ZN9rocsparseL22gebsrmvn_mxn_16_kernelILj98ELj14ELj7EfEEvi20rocsparse_direction_NS_24const_host_device_scalarIT2_EEPKiS6_PKS3_iiS8_S4_PS3_21rocsparse_index_base_b, .Lfunc_end16-_ZN9rocsparseL22gebsrmvn_mxn_16_kernelILj98ELj14ELj7EfEEvi20rocsparse_direction_NS_24const_host_device_scalarIT2_EEPKiS6_PKS3_iiS8_S4_PS3_21rocsparse_index_base_b
                                        ; -- End function
	.set _ZN9rocsparseL22gebsrmvn_mxn_16_kernelILj98ELj14ELj7EfEEvi20rocsparse_direction_NS_24const_host_device_scalarIT2_EEPKiS6_PKS3_iiS8_S4_PS3_21rocsparse_index_base_b.num_vgpr, 9
	.set _ZN9rocsparseL22gebsrmvn_mxn_16_kernelILj98ELj14ELj7EfEEvi20rocsparse_direction_NS_24const_host_device_scalarIT2_EEPKiS6_PKS3_iiS8_S4_PS3_21rocsparse_index_base_b.num_agpr, 0
	.set _ZN9rocsparseL22gebsrmvn_mxn_16_kernelILj98ELj14ELj7EfEEvi20rocsparse_direction_NS_24const_host_device_scalarIT2_EEPKiS6_PKS3_iiS8_S4_PS3_21rocsparse_index_base_b.numbered_sgpr, 20
	.set _ZN9rocsparseL22gebsrmvn_mxn_16_kernelILj98ELj14ELj7EfEEvi20rocsparse_direction_NS_24const_host_device_scalarIT2_EEPKiS6_PKS3_iiS8_S4_PS3_21rocsparse_index_base_b.num_named_barrier, 0
	.set _ZN9rocsparseL22gebsrmvn_mxn_16_kernelILj98ELj14ELj7EfEEvi20rocsparse_direction_NS_24const_host_device_scalarIT2_EEPKiS6_PKS3_iiS8_S4_PS3_21rocsparse_index_base_b.private_seg_size, 0
	.set _ZN9rocsparseL22gebsrmvn_mxn_16_kernelILj98ELj14ELj7EfEEvi20rocsparse_direction_NS_24const_host_device_scalarIT2_EEPKiS6_PKS3_iiS8_S4_PS3_21rocsparse_index_base_b.uses_vcc, 1
	.set _ZN9rocsparseL22gebsrmvn_mxn_16_kernelILj98ELj14ELj7EfEEvi20rocsparse_direction_NS_24const_host_device_scalarIT2_EEPKiS6_PKS3_iiS8_S4_PS3_21rocsparse_index_base_b.uses_flat_scratch, 0
	.set _ZN9rocsparseL22gebsrmvn_mxn_16_kernelILj98ELj14ELj7EfEEvi20rocsparse_direction_NS_24const_host_device_scalarIT2_EEPKiS6_PKS3_iiS8_S4_PS3_21rocsparse_index_base_b.has_dyn_sized_stack, 0
	.set _ZN9rocsparseL22gebsrmvn_mxn_16_kernelILj98ELj14ELj7EfEEvi20rocsparse_direction_NS_24const_host_device_scalarIT2_EEPKiS6_PKS3_iiS8_S4_PS3_21rocsparse_index_base_b.has_recursion, 0
	.set _ZN9rocsparseL22gebsrmvn_mxn_16_kernelILj98ELj14ELj7EfEEvi20rocsparse_direction_NS_24const_host_device_scalarIT2_EEPKiS6_PKS3_iiS8_S4_PS3_21rocsparse_index_base_b.has_indirect_call, 0
	.section	.AMDGPU.csdata,"",@progbits
; Kernel info:
; codeLenInByte = 1084
; TotalNumSgprs: 22
; NumVgprs: 9
; ScratchSize: 0
; MemoryBound: 0
; FloatMode: 240
; IeeeMode: 1
; LDSByteSize: 392 bytes/workgroup (compile time only)
; SGPRBlocks: 0
; VGPRBlocks: 0
; NumSGPRsForWavesPerEU: 22
; NumVGPRsForWavesPerEU: 9
; NamedBarCnt: 0
; Occupancy: 16
; WaveLimiterHint : 1
; COMPUTE_PGM_RSRC2:SCRATCH_EN: 0
; COMPUTE_PGM_RSRC2:USER_SGPR: 2
; COMPUTE_PGM_RSRC2:TRAP_HANDLER: 0
; COMPUTE_PGM_RSRC2:TGID_X_EN: 1
; COMPUTE_PGM_RSRC2:TGID_Y_EN: 0
; COMPUTE_PGM_RSRC2:TGID_Z_EN: 0
; COMPUTE_PGM_RSRC2:TIDIG_COMP_CNT: 0
	.section	.text._ZN9rocsparseL22gebsrmvn_mxn_16_kernelILj112ELj14ELj8EfEEvi20rocsparse_direction_NS_24const_host_device_scalarIT2_EEPKiS6_PKS3_iiS8_S4_PS3_21rocsparse_index_base_b,"axG",@progbits,_ZN9rocsparseL22gebsrmvn_mxn_16_kernelILj112ELj14ELj8EfEEvi20rocsparse_direction_NS_24const_host_device_scalarIT2_EEPKiS6_PKS3_iiS8_S4_PS3_21rocsparse_index_base_b,comdat
	.globl	_ZN9rocsparseL22gebsrmvn_mxn_16_kernelILj112ELj14ELj8EfEEvi20rocsparse_direction_NS_24const_host_device_scalarIT2_EEPKiS6_PKS3_iiS8_S4_PS3_21rocsparse_index_base_b ; -- Begin function _ZN9rocsparseL22gebsrmvn_mxn_16_kernelILj112ELj14ELj8EfEEvi20rocsparse_direction_NS_24const_host_device_scalarIT2_EEPKiS6_PKS3_iiS8_S4_PS3_21rocsparse_index_base_b
	.p2align	8
	.type	_ZN9rocsparseL22gebsrmvn_mxn_16_kernelILj112ELj14ELj8EfEEvi20rocsparse_direction_NS_24const_host_device_scalarIT2_EEPKiS6_PKS3_iiS8_S4_PS3_21rocsparse_index_base_b,@function
_ZN9rocsparseL22gebsrmvn_mxn_16_kernelILj112ELj14ELj8EfEEvi20rocsparse_direction_NS_24const_host_device_scalarIT2_EEPKiS6_PKS3_iiS8_S4_PS3_21rocsparse_index_base_b: ; @_ZN9rocsparseL22gebsrmvn_mxn_16_kernelILj112ELj14ELj8EfEEvi20rocsparse_direction_NS_24const_host_device_scalarIT2_EEPKiS6_PKS3_iiS8_S4_PS3_21rocsparse_index_base_b
; %bb.0:
	s_clause 0x2
	s_load_b64 s[14:15], s[0:1], 0x48
	s_load_b64 s[8:9], s[0:1], 0x8
	;; [unrolled: 1-line block ×3, first 2 shown]
	s_wait_kmcnt 0x0
	s_bitcmp1_b32 s15, 0
	s_cselect_b32 s4, -1, 0
	s_delay_alu instid0(SALU_CYCLE_1)
	s_and_b32 vcc_lo, exec_lo, s4
	s_xor_b32 s4, s4, -1
	s_cbranch_vccnz .LBB17_2
; %bb.1:
	s_load_b32 s8, s[8:9], 0x0
.LBB17_2:
	s_and_not1_b32 vcc_lo, exec_lo, s4
	s_cbranch_vccnz .LBB17_4
; %bb.3:
	s_load_b32 s2, s[2:3], 0x0
.LBB17_4:
	s_wait_kmcnt 0x0
	s_cmp_eq_f32 s8, 0
	s_cselect_b32 s3, -1, 0
	s_cmp_eq_f32 s2, 1.0
	s_cselect_b32 s4, -1, 0
	s_delay_alu instid0(SALU_CYCLE_1) | instskip(NEXT) | instid1(SALU_CYCLE_1)
	s_and_b32 s3, s3, s4
	s_and_b32 vcc_lo, exec_lo, s3
	s_cbranch_vccnz .LBB17_36
; %bb.5:
	s_clause 0x1
	s_load_b32 s3, s[0:1], 0x4
	s_load_b64 s[4:5], s[0:1], 0x10
	v_and_b32_e32 v3, 7, v0
	s_delay_alu instid0(VALU_DEP_1) | instskip(SKIP_3) | instid1(SALU_CYCLE_1)
	v_mov_b32_e32 v2, v3
	s_wait_kmcnt 0x0
	s_cmp_lg_u32 s3, 1
	s_cselect_b32 s3, -1, 0
	s_and_b32 vcc_lo, exec_lo, s3
	s_cbranch_vccnz .LBB17_7
; %bb.6:
	v_mul_u32_u24_e32 v1, 0x124a, v0
	s_delay_alu instid0(VALU_DEP_1)
	v_bfe_u32 v2, v1, 16, 3
.LBB17_7:
	s_bfe_u32 s6, ttmp6, 0x4000c
	s_and_b32 s7, ttmp6, 15
	s_add_co_i32 s6, s6, 1
	s_getreg_b32 s9, hwreg(HW_REG_IB_STS2, 6, 4)
	s_mul_i32 s6, ttmp9, s6
	v_mov_b32_e32 v1, 0
	s_add_co_i32 s7, s7, s6
	s_cmp_eq_u32 s9, 0
	s_cselect_b32 s12, ttmp9, s7
	s_delay_alu instid0(SALU_CYCLE_1) | instskip(NEXT) | instid1(SALU_CYCLE_1)
	s_ashr_i32 s13, s12, 31
	s_lshl_b64 s[6:7], s[12:13], 2
	s_delay_alu instid0(SALU_CYCLE_1)
	s_add_nc_u64 s[4:5], s[4:5], s[6:7]
	s_load_b64 s[18:19], s[4:5], 0x0
	s_load_b64 s[10:11], s[0:1], 0x40
	s_wait_kmcnt 0x0
	s_cmp_ge_i32 s18, s19
	s_cbranch_scc1 .LBB17_12
; %bb.8:
	s_clause 0x1
	s_load_b128 s[4:7], s[0:1], 0x18
	s_load_b64 s[16:17], s[0:1], 0x30
	v_mad_u32 v1, 0x70, s18, v0
	v_mul_u32_u24_e32 v4, 0x24a, v0
	s_wait_xcnt 0x0
	s_mul_i32 s0, s14, 0x70
	s_sub_co_i32 s1, s18, s14
	s_delay_alu instid0(VALU_DEP_1) | instskip(NEXT) | instid1(VALU_DEP_3)
	v_lshrrev_b32_e32 v4, 16, v4
	v_subrev_nc_u32_e32 v5, s0, v1
	v_mov_b32_e32 v1, 0
	s_sub_co_i32 s0, s19, s14
	s_branch .LBB17_10
.LBB17_9:                               ;   in Loop: Header=BB17_10 Depth=1
	s_or_b32 exec_lo, exec_lo, s9
	v_add_nc_u32_e32 v5, 0x70, v5
	s_add_co_i32 s1, s1, 1
	s_delay_alu instid0(SALU_CYCLE_1)
	s_cmp_ge_i32 s1, s0
	s_cbranch_scc1 .LBB17_12
.LBB17_10:                              ; =>This Inner Loop Header: Depth=1
	v_add_nc_u32_e32 v6, s1, v4
	s_mov_b32 s9, exec_lo
	s_delay_alu instid0(VALU_DEP_1)
	v_cmpx_gt_i32_e64 s0, v6
	s_cbranch_execz .LBB17_9
; %bb.11:                               ;   in Loop: Header=BB17_10 Depth=1
	s_wait_kmcnt 0x0
	global_load_b32 v6, v6, s[4:5] scale_offset
	s_wait_loadcnt 0x0
	v_subrev_nc_u32_e32 v6, s14, v6
	s_delay_alu instid0(VALU_DEP_1)
	v_lshl_or_b32 v6, v6, 3, v2
	global_load_b32 v7, v5, s[6:7] scale_offset
	global_load_b32 v8, v6, s[16:17] scale_offset
	s_wait_loadcnt 0x0
	v_fmac_f32_e32 v1, v7, v8
	s_branch .LBB17_9
.LBB17_12:
	v_lshlrev_b32_e32 v2, 2, v0
	s_and_b32 vcc_lo, exec_lo, s3
	ds_store_b32 v2, v1
	s_wait_dscnt 0x0
	s_barrier_signal -1
	s_barrier_wait -1
	s_cbranch_vccz .LBB17_22
; %bb.13:
	s_mov_b32 s0, exec_lo
	v_cmpx_gt_u32_e32 4, v3
	s_cbranch_execz .LBB17_15
; %bb.14:
	ds_load_2addr_b32 v[4:5], v2 offset1:4
	s_wait_dscnt 0x0
	v_add_f32_e32 v4, v5, v4
	ds_store_b32 v2, v4
.LBB17_15:
	s_or_b32 exec_lo, exec_lo, s0
	s_delay_alu instid0(SALU_CYCLE_1)
	s_mov_b32 s0, exec_lo
	s_wait_dscnt 0x0
	s_barrier_signal -1
	s_barrier_wait -1
	v_cmpx_gt_u32_e32 2, v3
	s_cbranch_execz .LBB17_17
; %bb.16:
	ds_load_2addr_b32 v[4:5], v2 offset1:2
	s_wait_dscnt 0x0
	v_add_f32_e32 v4, v5, v4
	ds_store_b32 v2, v4
.LBB17_17:
	s_or_b32 exec_lo, exec_lo, s0
	s_delay_alu instid0(SALU_CYCLE_1)
	s_mov_b32 s0, exec_lo
	s_wait_dscnt 0x0
	s_barrier_signal -1
	s_barrier_wait -1
	v_cmpx_eq_u32_e32 0, v3
	s_cbranch_execz .LBB17_19
; %bb.18:
	ds_load_2addr_b32 v[4:5], v2 offset1:1
	s_wait_dscnt 0x0
	v_add_f32_e32 v3, v5, v4
	ds_store_b32 v2, v3
.LBB17_19:
	s_or_b32 exec_lo, exec_lo, s0
	v_mov_b32_e32 v3, v1
	s_mov_b32 s0, exec_lo
	s_wait_dscnt 0x0
	s_barrier_signal -1
	s_barrier_wait -1
	v_cmpx_gt_u32_e32 14, v0
; %bb.20:
	v_mad_u32_u24 v3, v0, 28, v2
	ds_load_b32 v3, v3
; %bb.21:
	s_or_b32 exec_lo, exec_lo, s0
	s_branch .LBB17_32
.LBB17_22:
                                        ; implicit-def: $vgpr3
	s_cbranch_execz .LBB17_32
; %bb.23:
	s_mov_b32 s0, exec_lo
	v_cmpx_gt_u32_e32 56, v0
	s_cbranch_execz .LBB17_25
; %bb.24:
	ds_load_2addr_b32 v[4:5], v2 offset1:56
	s_wait_dscnt 0x0
	v_add_f32_e32 v3, v5, v4
	ds_store_b32 v2, v3
.LBB17_25:
	s_or_b32 exec_lo, exec_lo, s0
	s_delay_alu instid0(SALU_CYCLE_1)
	s_mov_b32 s0, exec_lo
	s_wait_dscnt 0x0
	s_barrier_signal -1
	s_barrier_wait -1
	v_cmpx_gt_u32_e32 28, v0
	s_cbranch_execz .LBB17_27
; %bb.26:
	ds_load_2addr_b32 v[4:5], v2 offset1:28
	s_wait_dscnt 0x0
	v_add_f32_e32 v3, v5, v4
	ds_store_b32 v2, v3
.LBB17_27:
	s_or_b32 exec_lo, exec_lo, s0
	s_delay_alu instid0(SALU_CYCLE_1)
	s_mov_b32 s0, exec_lo
	s_wait_dscnt 0x0
	v_cmpx_lt_u32_e32 13, v0
	s_xor_b32 s0, exec_lo, s0
; %bb.28:
                                        ; implicit-def: $vgpr2
; %bb.29:
	s_delay_alu instid0(SALU_CYCLE_1)
	s_and_not1_saveexec_b32 s0, s0
	s_cbranch_execz .LBB17_31
; %bb.30:
	ds_load_2addr_b32 v[4:5], v2 offset1:14
	s_wait_dscnt 0x0
	v_add_f32_e32 v1, v5, v4
	ds_store_b32 v2, v1
	s_wait_dscnt 0x0
	ds_load_b32 v1, v2
.LBB17_31:
	s_or_b32 exec_lo, exec_lo, s0
	s_wait_dscnt 0x0
	v_mov_b32_e32 v3, v1
.LBB17_32:
	s_mov_b32 s0, exec_lo
	v_cmpx_gt_u32_e32 14, v0
	s_cbranch_execz .LBB17_36
; %bb.33:
	v_mad_u32 v0, s12, 14, v0
	s_wait_dscnt 0x0
	v_mul_f32_e32 v1, s8, v3
	s_cmp_eq_f32 s2, 0
	s_mov_b32 s0, 0
	s_cbranch_scc0 .LBB17_37
; %bb.34:
	global_store_b32 v0, v1, s[10:11] scale_offset
	s_and_not1_b32 vcc_lo, exec_lo, s0
	s_cbranch_vccnz .LBB17_36
.LBB17_35:
	global_load_b32 v2, v0, s[10:11] scale_offset
	s_wait_loadcnt 0x0
	s_wait_xcnt 0x1
	v_fmac_f32_e32 v1, s2, v2
	global_store_b32 v0, v1, s[10:11] scale_offset
.LBB17_36:
	s_endpgm
.LBB17_37:
	s_branch .LBB17_35
	.section	.rodata,"a",@progbits
	.p2align	6, 0x0
	.amdhsa_kernel _ZN9rocsparseL22gebsrmvn_mxn_16_kernelILj112ELj14ELj8EfEEvi20rocsparse_direction_NS_24const_host_device_scalarIT2_EEPKiS6_PKS3_iiS8_S4_PS3_21rocsparse_index_base_b
		.amdhsa_group_segment_fixed_size 448
		.amdhsa_private_segment_fixed_size 0
		.amdhsa_kernarg_size 80
		.amdhsa_user_sgpr_count 2
		.amdhsa_user_sgpr_dispatch_ptr 0
		.amdhsa_user_sgpr_queue_ptr 0
		.amdhsa_user_sgpr_kernarg_segment_ptr 1
		.amdhsa_user_sgpr_dispatch_id 0
		.amdhsa_user_sgpr_kernarg_preload_length 0
		.amdhsa_user_sgpr_kernarg_preload_offset 0
		.amdhsa_user_sgpr_private_segment_size 0
		.amdhsa_wavefront_size32 1
		.amdhsa_uses_dynamic_stack 0
		.amdhsa_enable_private_segment 0
		.amdhsa_system_sgpr_workgroup_id_x 1
		.amdhsa_system_sgpr_workgroup_id_y 0
		.amdhsa_system_sgpr_workgroup_id_z 0
		.amdhsa_system_sgpr_workgroup_info 0
		.amdhsa_system_vgpr_workitem_id 0
		.amdhsa_next_free_vgpr 9
		.amdhsa_next_free_sgpr 20
		.amdhsa_named_barrier_count 0
		.amdhsa_reserve_vcc 1
		.amdhsa_float_round_mode_32 0
		.amdhsa_float_round_mode_16_64 0
		.amdhsa_float_denorm_mode_32 3
		.amdhsa_float_denorm_mode_16_64 3
		.amdhsa_fp16_overflow 0
		.amdhsa_memory_ordered 1
		.amdhsa_forward_progress 1
		.amdhsa_inst_pref_size 8
		.amdhsa_round_robin_scheduling 0
		.amdhsa_exception_fp_ieee_invalid_op 0
		.amdhsa_exception_fp_denorm_src 0
		.amdhsa_exception_fp_ieee_div_zero 0
		.amdhsa_exception_fp_ieee_overflow 0
		.amdhsa_exception_fp_ieee_underflow 0
		.amdhsa_exception_fp_ieee_inexact 0
		.amdhsa_exception_int_div_zero 0
	.end_amdhsa_kernel
	.section	.text._ZN9rocsparseL22gebsrmvn_mxn_16_kernelILj112ELj14ELj8EfEEvi20rocsparse_direction_NS_24const_host_device_scalarIT2_EEPKiS6_PKS3_iiS8_S4_PS3_21rocsparse_index_base_b,"axG",@progbits,_ZN9rocsparseL22gebsrmvn_mxn_16_kernelILj112ELj14ELj8EfEEvi20rocsparse_direction_NS_24const_host_device_scalarIT2_EEPKiS6_PKS3_iiS8_S4_PS3_21rocsparse_index_base_b,comdat
.Lfunc_end17:
	.size	_ZN9rocsparseL22gebsrmvn_mxn_16_kernelILj112ELj14ELj8EfEEvi20rocsparse_direction_NS_24const_host_device_scalarIT2_EEPKiS6_PKS3_iiS8_S4_PS3_21rocsparse_index_base_b, .Lfunc_end17-_ZN9rocsparseL22gebsrmvn_mxn_16_kernelILj112ELj14ELj8EfEEvi20rocsparse_direction_NS_24const_host_device_scalarIT2_EEPKiS6_PKS3_iiS8_S4_PS3_21rocsparse_index_base_b
                                        ; -- End function
	.set _ZN9rocsparseL22gebsrmvn_mxn_16_kernelILj112ELj14ELj8EfEEvi20rocsparse_direction_NS_24const_host_device_scalarIT2_EEPKiS6_PKS3_iiS8_S4_PS3_21rocsparse_index_base_b.num_vgpr, 9
	.set _ZN9rocsparseL22gebsrmvn_mxn_16_kernelILj112ELj14ELj8EfEEvi20rocsparse_direction_NS_24const_host_device_scalarIT2_EEPKiS6_PKS3_iiS8_S4_PS3_21rocsparse_index_base_b.num_agpr, 0
	.set _ZN9rocsparseL22gebsrmvn_mxn_16_kernelILj112ELj14ELj8EfEEvi20rocsparse_direction_NS_24const_host_device_scalarIT2_EEPKiS6_PKS3_iiS8_S4_PS3_21rocsparse_index_base_b.numbered_sgpr, 20
	.set _ZN9rocsparseL22gebsrmvn_mxn_16_kernelILj112ELj14ELj8EfEEvi20rocsparse_direction_NS_24const_host_device_scalarIT2_EEPKiS6_PKS3_iiS8_S4_PS3_21rocsparse_index_base_b.num_named_barrier, 0
	.set _ZN9rocsparseL22gebsrmvn_mxn_16_kernelILj112ELj14ELj8EfEEvi20rocsparse_direction_NS_24const_host_device_scalarIT2_EEPKiS6_PKS3_iiS8_S4_PS3_21rocsparse_index_base_b.private_seg_size, 0
	.set _ZN9rocsparseL22gebsrmvn_mxn_16_kernelILj112ELj14ELj8EfEEvi20rocsparse_direction_NS_24const_host_device_scalarIT2_EEPKiS6_PKS3_iiS8_S4_PS3_21rocsparse_index_base_b.uses_vcc, 1
	.set _ZN9rocsparseL22gebsrmvn_mxn_16_kernelILj112ELj14ELj8EfEEvi20rocsparse_direction_NS_24const_host_device_scalarIT2_EEPKiS6_PKS3_iiS8_S4_PS3_21rocsparse_index_base_b.uses_flat_scratch, 0
	.set _ZN9rocsparseL22gebsrmvn_mxn_16_kernelILj112ELj14ELj8EfEEvi20rocsparse_direction_NS_24const_host_device_scalarIT2_EEPKiS6_PKS3_iiS8_S4_PS3_21rocsparse_index_base_b.has_dyn_sized_stack, 0
	.set _ZN9rocsparseL22gebsrmvn_mxn_16_kernelILj112ELj14ELj8EfEEvi20rocsparse_direction_NS_24const_host_device_scalarIT2_EEPKiS6_PKS3_iiS8_S4_PS3_21rocsparse_index_base_b.has_recursion, 0
	.set _ZN9rocsparseL22gebsrmvn_mxn_16_kernelILj112ELj14ELj8EfEEvi20rocsparse_direction_NS_24const_host_device_scalarIT2_EEPKiS6_PKS3_iiS8_S4_PS3_21rocsparse_index_base_b.has_indirect_call, 0
	.section	.AMDGPU.csdata,"",@progbits
; Kernel info:
; codeLenInByte = 996
; TotalNumSgprs: 22
; NumVgprs: 9
; ScratchSize: 0
; MemoryBound: 0
; FloatMode: 240
; IeeeMode: 1
; LDSByteSize: 448 bytes/workgroup (compile time only)
; SGPRBlocks: 0
; VGPRBlocks: 0
; NumSGPRsForWavesPerEU: 22
; NumVGPRsForWavesPerEU: 9
; NamedBarCnt: 0
; Occupancy: 16
; WaveLimiterHint : 1
; COMPUTE_PGM_RSRC2:SCRATCH_EN: 0
; COMPUTE_PGM_RSRC2:USER_SGPR: 2
; COMPUTE_PGM_RSRC2:TRAP_HANDLER: 0
; COMPUTE_PGM_RSRC2:TGID_X_EN: 1
; COMPUTE_PGM_RSRC2:TGID_Y_EN: 0
; COMPUTE_PGM_RSRC2:TGID_Z_EN: 0
; COMPUTE_PGM_RSRC2:TIDIG_COMP_CNT: 0
	.section	.text._ZN9rocsparseL22gebsrmvn_mxn_16_kernelILj60ELj15ELj1EfEEvi20rocsparse_direction_NS_24const_host_device_scalarIT2_EEPKiS6_PKS3_iiS8_S4_PS3_21rocsparse_index_base_b,"axG",@progbits,_ZN9rocsparseL22gebsrmvn_mxn_16_kernelILj60ELj15ELj1EfEEvi20rocsparse_direction_NS_24const_host_device_scalarIT2_EEPKiS6_PKS3_iiS8_S4_PS3_21rocsparse_index_base_b,comdat
	.globl	_ZN9rocsparseL22gebsrmvn_mxn_16_kernelILj60ELj15ELj1EfEEvi20rocsparse_direction_NS_24const_host_device_scalarIT2_EEPKiS6_PKS3_iiS8_S4_PS3_21rocsparse_index_base_b ; -- Begin function _ZN9rocsparseL22gebsrmvn_mxn_16_kernelILj60ELj15ELj1EfEEvi20rocsparse_direction_NS_24const_host_device_scalarIT2_EEPKiS6_PKS3_iiS8_S4_PS3_21rocsparse_index_base_b
	.p2align	8
	.type	_ZN9rocsparseL22gebsrmvn_mxn_16_kernelILj60ELj15ELj1EfEEvi20rocsparse_direction_NS_24const_host_device_scalarIT2_EEPKiS6_PKS3_iiS8_S4_PS3_21rocsparse_index_base_b,@function
_ZN9rocsparseL22gebsrmvn_mxn_16_kernelILj60ELj15ELj1EfEEvi20rocsparse_direction_NS_24const_host_device_scalarIT2_EEPKiS6_PKS3_iiS8_S4_PS3_21rocsparse_index_base_b: ; @_ZN9rocsparseL22gebsrmvn_mxn_16_kernelILj60ELj15ELj1EfEEvi20rocsparse_direction_NS_24const_host_device_scalarIT2_EEPKiS6_PKS3_iiS8_S4_PS3_21rocsparse_index_base_b
; %bb.0:
	s_clause 0x2
	s_load_b64 s[14:15], s[0:1], 0x48
	s_load_b64 s[8:9], s[0:1], 0x8
	;; [unrolled: 1-line block ×3, first 2 shown]
	s_wait_kmcnt 0x0
	s_bitcmp1_b32 s15, 0
	s_cselect_b32 s4, -1, 0
	s_delay_alu instid0(SALU_CYCLE_1)
	s_and_b32 vcc_lo, exec_lo, s4
	s_xor_b32 s4, s4, -1
	s_cbranch_vccnz .LBB18_2
; %bb.1:
	s_load_b32 s8, s[8:9], 0x0
.LBB18_2:
	s_and_not1_b32 vcc_lo, exec_lo, s4
	s_cbranch_vccnz .LBB18_4
; %bb.3:
	s_load_b32 s2, s[2:3], 0x0
.LBB18_4:
	s_wait_kmcnt 0x0
	s_cmp_eq_f32 s8, 0
	s_cselect_b32 s3, -1, 0
	s_cmp_eq_f32 s2, 1.0
	s_cselect_b32 s4, -1, 0
	s_delay_alu instid0(SALU_CYCLE_1) | instskip(NEXT) | instid1(SALU_CYCLE_1)
	s_and_b32 s3, s3, s4
	s_and_b32 vcc_lo, exec_lo, s3
	s_cbranch_vccnz .LBB18_20
; %bb.5:
	s_load_b64 s[4:5], s[0:1], 0x10
	s_bfe_u32 s3, ttmp6, 0x4000c
	s_and_b32 s6, ttmp6, 15
	s_add_co_i32 s3, s3, 1
	s_getreg_b32 s7, hwreg(HW_REG_IB_STS2, 6, 4)
	s_mul_i32 s3, ttmp9, s3
	s_delay_alu instid0(SALU_CYCLE_1) | instskip(SKIP_2) | instid1(SALU_CYCLE_1)
	s_add_co_i32 s6, s6, s3
	s_cmp_eq_u32 s7, 0
	s_cselect_b32 s12, ttmp9, s6
	s_ashr_i32 s13, s12, 31
	s_delay_alu instid0(SALU_CYCLE_1)
	s_lshl_b64 s[6:7], s[12:13], 2
	s_wait_kmcnt 0x0
	s_add_nc_u64 s[4:5], s[4:5], s[6:7]
	s_load_b64 s[18:19], s[4:5], 0x0
	s_wait_kmcnt 0x0
	s_cmp_lt_i32 s18, s19
	s_cbranch_scc1 .LBB18_7
; %bb.6:
	s_load_b64 s[10:11], s[0:1], 0x40
	v_mov_b32_e32 v1, 0
	s_cbranch_execz .LBB18_8
	s_branch .LBB18_12
.LBB18_7:
	s_load_b64 s[10:11], s[0:1], 0x40
	v_mov_b32_e32 v1, 0
.LBB18_8:
	s_clause 0x1
	s_load_b128 s[4:7], s[0:1], 0x18
	s_load_b64 s[16:17], s[0:1], 0x30
	v_mad_u32 v1, s18, 15, v0
	v_mul_u32_u24_e32 v2, 0x1112, v0
	s_wait_xcnt 0x0
	s_mul_i32 s0, s14, 15
	s_sub_co_i32 s1, s18, s14
	s_delay_alu instid0(VALU_DEP_1) | instskip(NEXT) | instid1(VALU_DEP_3)
	v_lshrrev_b32_e32 v2, 16, v2
	v_subrev_nc_u32_e32 v3, s0, v1
	v_mov_b32_e32 v1, 0
	s_sub_co_i32 s0, s19, s14
	s_branch .LBB18_10
.LBB18_9:                               ;   in Loop: Header=BB18_10 Depth=1
	s_or_b32 exec_lo, exec_lo, s3
	v_add_nc_u32_e32 v3, 60, v3
	s_add_co_i32 s1, s1, 4
	s_delay_alu instid0(SALU_CYCLE_1)
	s_cmp_ge_i32 s1, s0
	s_cbranch_scc1 .LBB18_12
.LBB18_10:                              ; =>This Inner Loop Header: Depth=1
	v_add_nc_u32_e32 v4, s1, v2
	s_mov_b32 s3, exec_lo
	s_delay_alu instid0(VALU_DEP_1)
	v_cmpx_gt_i32_e64 s0, v4
	s_cbranch_execz .LBB18_9
; %bb.11:                               ;   in Loop: Header=BB18_10 Depth=1
	s_wait_kmcnt 0x0
	global_load_b32 v4, v4, s[4:5] scale_offset
	s_wait_loadcnt 0x0
	v_subrev_nc_u32_e32 v4, s14, v4
	global_load_b32 v5, v3, s[6:7] scale_offset
	global_load_b32 v6, v4, s[16:17] scale_offset
	s_wait_loadcnt 0x0
	v_fmac_f32_e32 v1, v5, v6
	s_branch .LBB18_9
.LBB18_12:
	v_lshlrev_b32_e32 v2, 2, v0
	s_wait_xcnt 0x0
	s_mov_b32 s0, exec_lo
	ds_store_b32 v2, v1
	s_wait_dscnt 0x0
	s_barrier_signal -1
	s_barrier_wait -1
	v_cmpx_gt_u32_e32 30, v0
	s_cbranch_execz .LBB18_14
; %bb.13:
	ds_load_2addr_b32 v[4:5], v2 offset1:30
	s_wait_dscnt 0x0
	v_add_f32_e32 v1, v5, v4
	ds_store_b32 v2, v1
.LBB18_14:
	s_or_b32 exec_lo, exec_lo, s0
	v_cmp_gt_u32_e32 vcc_lo, 15, v0
	s_wait_dscnt 0x0
	s_barrier_signal -1
	s_barrier_wait -1
	s_and_saveexec_b32 s0, vcc_lo
	s_cbranch_execz .LBB18_16
; %bb.15:
	ds_load_2addr_b32 v[4:5], v2 offset1:15
	s_wait_dscnt 0x0
	v_add_f32_e32 v1, v5, v4
	ds_store_b32 v2, v1
.LBB18_16:
	s_or_b32 exec_lo, exec_lo, s0
	s_wait_dscnt 0x0
	s_barrier_signal -1
	s_barrier_wait -1
	s_and_saveexec_b32 s0, vcc_lo
	s_cbranch_execz .LBB18_20
; %bb.17:
	ds_load_b32 v1, v2
	v_mad_u32 v0, s12, 15, v0
	s_cmp_eq_f32 s2, 0
	s_mov_b32 s0, 0
	s_wait_dscnt 0x0
	v_mul_f32_e32 v1, s8, v1
	s_cbranch_scc0 .LBB18_21
; %bb.18:
	s_wait_kmcnt 0x0
	global_store_b32 v0, v1, s[10:11] scale_offset
	s_and_not1_b32 vcc_lo, exec_lo, s0
	s_cbranch_vccnz .LBB18_20
.LBB18_19:
	s_wait_kmcnt 0x0
	global_load_b32 v2, v0, s[10:11] scale_offset
	s_wait_loadcnt 0x0
	s_wait_xcnt 0x1
	v_fmac_f32_e32 v1, s2, v2
	global_store_b32 v0, v1, s[10:11] scale_offset
.LBB18_20:
	s_endpgm
.LBB18_21:
	s_branch .LBB18_19
	.section	.rodata,"a",@progbits
	.p2align	6, 0x0
	.amdhsa_kernel _ZN9rocsparseL22gebsrmvn_mxn_16_kernelILj60ELj15ELj1EfEEvi20rocsparse_direction_NS_24const_host_device_scalarIT2_EEPKiS6_PKS3_iiS8_S4_PS3_21rocsparse_index_base_b
		.amdhsa_group_segment_fixed_size 240
		.amdhsa_private_segment_fixed_size 0
		.amdhsa_kernarg_size 80
		.amdhsa_user_sgpr_count 2
		.amdhsa_user_sgpr_dispatch_ptr 0
		.amdhsa_user_sgpr_queue_ptr 0
		.amdhsa_user_sgpr_kernarg_segment_ptr 1
		.amdhsa_user_sgpr_dispatch_id 0
		.amdhsa_user_sgpr_kernarg_preload_length 0
		.amdhsa_user_sgpr_kernarg_preload_offset 0
		.amdhsa_user_sgpr_private_segment_size 0
		.amdhsa_wavefront_size32 1
		.amdhsa_uses_dynamic_stack 0
		.amdhsa_enable_private_segment 0
		.amdhsa_system_sgpr_workgroup_id_x 1
		.amdhsa_system_sgpr_workgroup_id_y 0
		.amdhsa_system_sgpr_workgroup_id_z 0
		.amdhsa_system_sgpr_workgroup_info 0
		.amdhsa_system_vgpr_workitem_id 0
		.amdhsa_next_free_vgpr 7
		.amdhsa_next_free_sgpr 20
		.amdhsa_named_barrier_count 0
		.amdhsa_reserve_vcc 1
		.amdhsa_float_round_mode_32 0
		.amdhsa_float_round_mode_16_64 0
		.amdhsa_float_denorm_mode_32 3
		.amdhsa_float_denorm_mode_16_64 3
		.amdhsa_fp16_overflow 0
		.amdhsa_memory_ordered 1
		.amdhsa_forward_progress 1
		.amdhsa_inst_pref_size 6
		.amdhsa_round_robin_scheduling 0
		.amdhsa_exception_fp_ieee_invalid_op 0
		.amdhsa_exception_fp_denorm_src 0
		.amdhsa_exception_fp_ieee_div_zero 0
		.amdhsa_exception_fp_ieee_overflow 0
		.amdhsa_exception_fp_ieee_underflow 0
		.amdhsa_exception_fp_ieee_inexact 0
		.amdhsa_exception_int_div_zero 0
	.end_amdhsa_kernel
	.section	.text._ZN9rocsparseL22gebsrmvn_mxn_16_kernelILj60ELj15ELj1EfEEvi20rocsparse_direction_NS_24const_host_device_scalarIT2_EEPKiS6_PKS3_iiS8_S4_PS3_21rocsparse_index_base_b,"axG",@progbits,_ZN9rocsparseL22gebsrmvn_mxn_16_kernelILj60ELj15ELj1EfEEvi20rocsparse_direction_NS_24const_host_device_scalarIT2_EEPKiS6_PKS3_iiS8_S4_PS3_21rocsparse_index_base_b,comdat
.Lfunc_end18:
	.size	_ZN9rocsparseL22gebsrmvn_mxn_16_kernelILj60ELj15ELj1EfEEvi20rocsparse_direction_NS_24const_host_device_scalarIT2_EEPKiS6_PKS3_iiS8_S4_PS3_21rocsparse_index_base_b, .Lfunc_end18-_ZN9rocsparseL22gebsrmvn_mxn_16_kernelILj60ELj15ELj1EfEEvi20rocsparse_direction_NS_24const_host_device_scalarIT2_EEPKiS6_PKS3_iiS8_S4_PS3_21rocsparse_index_base_b
                                        ; -- End function
	.set _ZN9rocsparseL22gebsrmvn_mxn_16_kernelILj60ELj15ELj1EfEEvi20rocsparse_direction_NS_24const_host_device_scalarIT2_EEPKiS6_PKS3_iiS8_S4_PS3_21rocsparse_index_base_b.num_vgpr, 7
	.set _ZN9rocsparseL22gebsrmvn_mxn_16_kernelILj60ELj15ELj1EfEEvi20rocsparse_direction_NS_24const_host_device_scalarIT2_EEPKiS6_PKS3_iiS8_S4_PS3_21rocsparse_index_base_b.num_agpr, 0
	.set _ZN9rocsparseL22gebsrmvn_mxn_16_kernelILj60ELj15ELj1EfEEvi20rocsparse_direction_NS_24const_host_device_scalarIT2_EEPKiS6_PKS3_iiS8_S4_PS3_21rocsparse_index_base_b.numbered_sgpr, 20
	.set _ZN9rocsparseL22gebsrmvn_mxn_16_kernelILj60ELj15ELj1EfEEvi20rocsparse_direction_NS_24const_host_device_scalarIT2_EEPKiS6_PKS3_iiS8_S4_PS3_21rocsparse_index_base_b.num_named_barrier, 0
	.set _ZN9rocsparseL22gebsrmvn_mxn_16_kernelILj60ELj15ELj1EfEEvi20rocsparse_direction_NS_24const_host_device_scalarIT2_EEPKiS6_PKS3_iiS8_S4_PS3_21rocsparse_index_base_b.private_seg_size, 0
	.set _ZN9rocsparseL22gebsrmvn_mxn_16_kernelILj60ELj15ELj1EfEEvi20rocsparse_direction_NS_24const_host_device_scalarIT2_EEPKiS6_PKS3_iiS8_S4_PS3_21rocsparse_index_base_b.uses_vcc, 1
	.set _ZN9rocsparseL22gebsrmvn_mxn_16_kernelILj60ELj15ELj1EfEEvi20rocsparse_direction_NS_24const_host_device_scalarIT2_EEPKiS6_PKS3_iiS8_S4_PS3_21rocsparse_index_base_b.uses_flat_scratch, 0
	.set _ZN9rocsparseL22gebsrmvn_mxn_16_kernelILj60ELj15ELj1EfEEvi20rocsparse_direction_NS_24const_host_device_scalarIT2_EEPKiS6_PKS3_iiS8_S4_PS3_21rocsparse_index_base_b.has_dyn_sized_stack, 0
	.set _ZN9rocsparseL22gebsrmvn_mxn_16_kernelILj60ELj15ELj1EfEEvi20rocsparse_direction_NS_24const_host_device_scalarIT2_EEPKiS6_PKS3_iiS8_S4_PS3_21rocsparse_index_base_b.has_recursion, 0
	.set _ZN9rocsparseL22gebsrmvn_mxn_16_kernelILj60ELj15ELj1EfEEvi20rocsparse_direction_NS_24const_host_device_scalarIT2_EEPKiS6_PKS3_iiS8_S4_PS3_21rocsparse_index_base_b.has_indirect_call, 0
	.section	.AMDGPU.csdata,"",@progbits
; Kernel info:
; codeLenInByte = 664
; TotalNumSgprs: 22
; NumVgprs: 7
; ScratchSize: 0
; MemoryBound: 0
; FloatMode: 240
; IeeeMode: 1
; LDSByteSize: 240 bytes/workgroup (compile time only)
; SGPRBlocks: 0
; VGPRBlocks: 0
; NumSGPRsForWavesPerEU: 22
; NumVGPRsForWavesPerEU: 7
; NamedBarCnt: 0
; Occupancy: 16
; WaveLimiterHint : 1
; COMPUTE_PGM_RSRC2:SCRATCH_EN: 0
; COMPUTE_PGM_RSRC2:USER_SGPR: 2
; COMPUTE_PGM_RSRC2:TRAP_HANDLER: 0
; COMPUTE_PGM_RSRC2:TGID_X_EN: 1
; COMPUTE_PGM_RSRC2:TGID_Y_EN: 0
; COMPUTE_PGM_RSRC2:TGID_Z_EN: 0
; COMPUTE_PGM_RSRC2:TIDIG_COMP_CNT: 0
	.section	.text._ZN9rocsparseL22gebsrmvn_mxn_16_kernelILj60ELj15ELj2EfEEvi20rocsparse_direction_NS_24const_host_device_scalarIT2_EEPKiS6_PKS3_iiS8_S4_PS3_21rocsparse_index_base_b,"axG",@progbits,_ZN9rocsparseL22gebsrmvn_mxn_16_kernelILj60ELj15ELj2EfEEvi20rocsparse_direction_NS_24const_host_device_scalarIT2_EEPKiS6_PKS3_iiS8_S4_PS3_21rocsparse_index_base_b,comdat
	.globl	_ZN9rocsparseL22gebsrmvn_mxn_16_kernelILj60ELj15ELj2EfEEvi20rocsparse_direction_NS_24const_host_device_scalarIT2_EEPKiS6_PKS3_iiS8_S4_PS3_21rocsparse_index_base_b ; -- Begin function _ZN9rocsparseL22gebsrmvn_mxn_16_kernelILj60ELj15ELj2EfEEvi20rocsparse_direction_NS_24const_host_device_scalarIT2_EEPKiS6_PKS3_iiS8_S4_PS3_21rocsparse_index_base_b
	.p2align	8
	.type	_ZN9rocsparseL22gebsrmvn_mxn_16_kernelILj60ELj15ELj2EfEEvi20rocsparse_direction_NS_24const_host_device_scalarIT2_EEPKiS6_PKS3_iiS8_S4_PS3_21rocsparse_index_base_b,@function
_ZN9rocsparseL22gebsrmvn_mxn_16_kernelILj60ELj15ELj2EfEEvi20rocsparse_direction_NS_24const_host_device_scalarIT2_EEPKiS6_PKS3_iiS8_S4_PS3_21rocsparse_index_base_b: ; @_ZN9rocsparseL22gebsrmvn_mxn_16_kernelILj60ELj15ELj2EfEEvi20rocsparse_direction_NS_24const_host_device_scalarIT2_EEPKiS6_PKS3_iiS8_S4_PS3_21rocsparse_index_base_b
; %bb.0:
	s_clause 0x2
	s_load_b64 s[14:15], s[0:1], 0x48
	s_load_b64 s[8:9], s[0:1], 0x8
	;; [unrolled: 1-line block ×3, first 2 shown]
	s_wait_kmcnt 0x0
	s_bitcmp1_b32 s15, 0
	s_cselect_b32 s4, -1, 0
	s_delay_alu instid0(SALU_CYCLE_1)
	s_and_b32 vcc_lo, exec_lo, s4
	s_xor_b32 s4, s4, -1
	s_cbranch_vccnz .LBB19_2
; %bb.1:
	s_load_b32 s8, s[8:9], 0x0
.LBB19_2:
	s_and_not1_b32 vcc_lo, exec_lo, s4
	s_cbranch_vccnz .LBB19_4
; %bb.3:
	s_load_b32 s2, s[2:3], 0x0
.LBB19_4:
	s_wait_kmcnt 0x0
	s_cmp_eq_f32 s8, 0
	s_cselect_b32 s3, -1, 0
	s_cmp_eq_f32 s2, 1.0
	s_cselect_b32 s4, -1, 0
	s_delay_alu instid0(SALU_CYCLE_1) | instskip(NEXT) | instid1(SALU_CYCLE_1)
	s_and_b32 s3, s3, s4
	s_and_b32 vcc_lo, exec_lo, s3
	s_cbranch_vccnz .LBB19_30
; %bb.5:
	s_clause 0x1
	s_load_b32 s3, s[0:1], 0x4
	s_load_b64 s[4:5], s[0:1], 0x10
	v_and_b32_e32 v2, 1, v0
	s_delay_alu instid0(VALU_DEP_1) | instskip(SKIP_3) | instid1(SALU_CYCLE_1)
	v_mov_b32_e32 v3, v2
	s_wait_kmcnt 0x0
	s_cmp_lg_u32 s3, 1
	s_cselect_b32 s3, -1, 0
	s_and_b32 vcc_lo, exec_lo, s3
	s_cbranch_vccnz .LBB19_7
; %bb.6:
	v_mul_u32_u24_e32 v1, 0x1112, v0
	s_delay_alu instid0(VALU_DEP_1)
	v_bfe_u32 v3, v1, 16, 1
.LBB19_7:
	s_bfe_u32 s6, ttmp6, 0x4000c
	s_and_b32 s7, ttmp6, 15
	s_add_co_i32 s6, s6, 1
	s_getreg_b32 s9, hwreg(HW_REG_IB_STS2, 6, 4)
	s_mul_i32 s6, ttmp9, s6
	v_mov_b32_e32 v1, 0
	s_add_co_i32 s7, s7, s6
	s_cmp_eq_u32 s9, 0
	s_cselect_b32 s12, ttmp9, s7
	s_delay_alu instid0(SALU_CYCLE_1) | instskip(NEXT) | instid1(SALU_CYCLE_1)
	s_ashr_i32 s13, s12, 31
	s_lshl_b64 s[6:7], s[12:13], 2
	s_delay_alu instid0(SALU_CYCLE_1)
	s_add_nc_u64 s[4:5], s[4:5], s[6:7]
	s_load_b64 s[18:19], s[4:5], 0x0
	s_load_b64 s[10:11], s[0:1], 0x40
	s_wait_kmcnt 0x0
	s_cmp_ge_i32 s18, s19
	s_cbranch_scc1 .LBB19_12
; %bb.8:
	s_clause 0x1
	s_load_b128 s[4:7], s[0:1], 0x18
	s_load_b64 s[16:17], s[0:1], 0x30
	v_mad_u32 v1, s18, 30, v0
	v_mul_u32_u24_e32 v4, 0x889, v0
	s_wait_xcnt 0x0
	s_mul_i32 s0, s14, 30
	s_sub_co_i32 s1, s18, s14
	s_delay_alu instid0(VALU_DEP_1) | instskip(NEXT) | instid1(VALU_DEP_3)
	v_lshrrev_b32_e32 v4, 16, v4
	v_subrev_nc_u32_e32 v5, s0, v1
	v_mov_b32_e32 v1, 0
	s_sub_co_i32 s0, s19, s14
	s_branch .LBB19_10
.LBB19_9:                               ;   in Loop: Header=BB19_10 Depth=1
	s_or_b32 exec_lo, exec_lo, s9
	v_add_nc_u32_e32 v5, 60, v5
	s_add_co_i32 s1, s1, 2
	s_delay_alu instid0(SALU_CYCLE_1)
	s_cmp_ge_i32 s1, s0
	s_cbranch_scc1 .LBB19_12
.LBB19_10:                              ; =>This Inner Loop Header: Depth=1
	v_add_nc_u32_e32 v6, s1, v4
	s_mov_b32 s9, exec_lo
	s_delay_alu instid0(VALU_DEP_1)
	v_cmpx_gt_i32_e64 s0, v6
	s_cbranch_execz .LBB19_9
; %bb.11:                               ;   in Loop: Header=BB19_10 Depth=1
	s_wait_kmcnt 0x0
	global_load_b32 v6, v6, s[4:5] scale_offset
	s_wait_loadcnt 0x0
	v_subrev_nc_u32_e32 v6, s14, v6
	s_delay_alu instid0(VALU_DEP_1)
	v_lshl_or_b32 v6, v6, 1, v3
	global_load_b32 v7, v5, s[6:7] scale_offset
	global_load_b32 v8, v6, s[16:17] scale_offset
	s_wait_loadcnt 0x0
	v_fmac_f32_e32 v1, v7, v8
	s_branch .LBB19_9
.LBB19_12:
	v_lshlrev_b32_e32 v3, 2, v0
	s_mov_b32 s0, exec_lo
	ds_store_b32 v3, v1
	s_wait_dscnt 0x0
	s_barrier_signal -1
	s_barrier_wait -1
	v_cmpx_gt_u32_e32 30, v0
	s_cbranch_execz .LBB19_14
; %bb.13:
	ds_load_2addr_b32 v[4:5], v3 offset1:30
	s_wait_dscnt 0x0
	v_add_f32_e32 v4, v5, v4
	ds_store_b32 v3, v4
.LBB19_14:
	s_or_b32 exec_lo, exec_lo, s0
	s_delay_alu instid0(SALU_CYCLE_1)
	s_and_b32 vcc_lo, exec_lo, s3
	s_wait_dscnt 0x0
	s_barrier_signal -1
	s_barrier_wait -1
	s_cbranch_vccz .LBB19_20
; %bb.15:
	s_mov_b32 s0, exec_lo
	v_cmpx_eq_u32_e32 0, v2
	s_cbranch_execz .LBB19_17
; %bb.16:
	ds_load_2addr_b32 v[4:5], v3 offset1:1
	s_wait_dscnt 0x0
	v_add_f32_e32 v2, v5, v4
	ds_store_b32 v3, v2
.LBB19_17:
	s_or_b32 exec_lo, exec_lo, s0
	v_mov_b32_e32 v2, v1
	s_mov_b32 s0, exec_lo
	s_wait_dscnt 0x0
	s_barrier_signal -1
	s_barrier_wait -1
	v_cmpx_gt_u32_e32 15, v0
; %bb.18:
	v_lshl_add_u32 v2, v0, 2, v3
	ds_load_b32 v2, v2
; %bb.19:
	s_or_b32 exec_lo, exec_lo, s0
	s_branch .LBB19_26
.LBB19_20:
                                        ; implicit-def: $vgpr2
	s_cbranch_execz .LBB19_26
; %bb.21:
	s_mov_b32 s0, exec_lo
	v_cmpx_lt_u32_e32 14, v0
	s_xor_b32 s0, exec_lo, s0
	s_cbranch_execz .LBB19_23
; %bb.22:
	s_wait_dscnt 0x0
                                        ; implicit-def: $vgpr3
.LBB19_23:
	s_and_not1_saveexec_b32 s0, s0
	s_cbranch_execz .LBB19_25
; %bb.24:
	ds_load_2addr_b32 v[4:5], v3 offset1:15
	s_wait_dscnt 0x0
	v_add_f32_e32 v1, v5, v4
	ds_store_b32 v3, v1
	s_wait_dscnt 0x0
	ds_load_b32 v1, v3
.LBB19_25:
	s_or_b32 exec_lo, exec_lo, s0
	s_wait_dscnt 0x0
	v_mov_b32_e32 v2, v1
.LBB19_26:
	s_mov_b32 s0, exec_lo
	v_cmpx_gt_u32_e32 15, v0
	s_cbranch_execz .LBB19_30
; %bb.27:
	v_mad_u32 v0, s12, 15, v0
	s_wait_dscnt 0x0
	v_mul_f32_e32 v1, s8, v2
	s_cmp_eq_f32 s2, 0
	s_mov_b32 s0, 0
	s_cbranch_scc0 .LBB19_31
; %bb.28:
	global_store_b32 v0, v1, s[10:11] scale_offset
	s_and_not1_b32 vcc_lo, exec_lo, s0
	s_cbranch_vccnz .LBB19_30
.LBB19_29:
	global_load_b32 v2, v0, s[10:11] scale_offset
	s_wait_loadcnt 0x0
	s_wait_xcnt 0x1
	v_fmac_f32_e32 v1, s2, v2
	global_store_b32 v0, v1, s[10:11] scale_offset
.LBB19_30:
	s_endpgm
.LBB19_31:
	s_branch .LBB19_29
	.section	.rodata,"a",@progbits
	.p2align	6, 0x0
	.amdhsa_kernel _ZN9rocsparseL22gebsrmvn_mxn_16_kernelILj60ELj15ELj2EfEEvi20rocsparse_direction_NS_24const_host_device_scalarIT2_EEPKiS6_PKS3_iiS8_S4_PS3_21rocsparse_index_base_b
		.amdhsa_group_segment_fixed_size 240
		.amdhsa_private_segment_fixed_size 0
		.amdhsa_kernarg_size 80
		.amdhsa_user_sgpr_count 2
		.amdhsa_user_sgpr_dispatch_ptr 0
		.amdhsa_user_sgpr_queue_ptr 0
		.amdhsa_user_sgpr_kernarg_segment_ptr 1
		.amdhsa_user_sgpr_dispatch_id 0
		.amdhsa_user_sgpr_kernarg_preload_length 0
		.amdhsa_user_sgpr_kernarg_preload_offset 0
		.amdhsa_user_sgpr_private_segment_size 0
		.amdhsa_wavefront_size32 1
		.amdhsa_uses_dynamic_stack 0
		.amdhsa_enable_private_segment 0
		.amdhsa_system_sgpr_workgroup_id_x 1
		.amdhsa_system_sgpr_workgroup_id_y 0
		.amdhsa_system_sgpr_workgroup_id_z 0
		.amdhsa_system_sgpr_workgroup_info 0
		.amdhsa_system_vgpr_workitem_id 0
		.amdhsa_next_free_vgpr 9
		.amdhsa_next_free_sgpr 20
		.amdhsa_named_barrier_count 0
		.amdhsa_reserve_vcc 1
		.amdhsa_float_round_mode_32 0
		.amdhsa_float_round_mode_16_64 0
		.amdhsa_float_denorm_mode_32 3
		.amdhsa_float_denorm_mode_16_64 3
		.amdhsa_fp16_overflow 0
		.amdhsa_memory_ordered 1
		.amdhsa_forward_progress 1
		.amdhsa_inst_pref_size 7
		.amdhsa_round_robin_scheduling 0
		.amdhsa_exception_fp_ieee_invalid_op 0
		.amdhsa_exception_fp_denorm_src 0
		.amdhsa_exception_fp_ieee_div_zero 0
		.amdhsa_exception_fp_ieee_overflow 0
		.amdhsa_exception_fp_ieee_underflow 0
		.amdhsa_exception_fp_ieee_inexact 0
		.amdhsa_exception_int_div_zero 0
	.end_amdhsa_kernel
	.section	.text._ZN9rocsparseL22gebsrmvn_mxn_16_kernelILj60ELj15ELj2EfEEvi20rocsparse_direction_NS_24const_host_device_scalarIT2_EEPKiS6_PKS3_iiS8_S4_PS3_21rocsparse_index_base_b,"axG",@progbits,_ZN9rocsparseL22gebsrmvn_mxn_16_kernelILj60ELj15ELj2EfEEvi20rocsparse_direction_NS_24const_host_device_scalarIT2_EEPKiS6_PKS3_iiS8_S4_PS3_21rocsparse_index_base_b,comdat
.Lfunc_end19:
	.size	_ZN9rocsparseL22gebsrmvn_mxn_16_kernelILj60ELj15ELj2EfEEvi20rocsparse_direction_NS_24const_host_device_scalarIT2_EEPKiS6_PKS3_iiS8_S4_PS3_21rocsparse_index_base_b, .Lfunc_end19-_ZN9rocsparseL22gebsrmvn_mxn_16_kernelILj60ELj15ELj2EfEEvi20rocsparse_direction_NS_24const_host_device_scalarIT2_EEPKiS6_PKS3_iiS8_S4_PS3_21rocsparse_index_base_b
                                        ; -- End function
	.set _ZN9rocsparseL22gebsrmvn_mxn_16_kernelILj60ELj15ELj2EfEEvi20rocsparse_direction_NS_24const_host_device_scalarIT2_EEPKiS6_PKS3_iiS8_S4_PS3_21rocsparse_index_base_b.num_vgpr, 9
	.set _ZN9rocsparseL22gebsrmvn_mxn_16_kernelILj60ELj15ELj2EfEEvi20rocsparse_direction_NS_24const_host_device_scalarIT2_EEPKiS6_PKS3_iiS8_S4_PS3_21rocsparse_index_base_b.num_agpr, 0
	.set _ZN9rocsparseL22gebsrmvn_mxn_16_kernelILj60ELj15ELj2EfEEvi20rocsparse_direction_NS_24const_host_device_scalarIT2_EEPKiS6_PKS3_iiS8_S4_PS3_21rocsparse_index_base_b.numbered_sgpr, 20
	.set _ZN9rocsparseL22gebsrmvn_mxn_16_kernelILj60ELj15ELj2EfEEvi20rocsparse_direction_NS_24const_host_device_scalarIT2_EEPKiS6_PKS3_iiS8_S4_PS3_21rocsparse_index_base_b.num_named_barrier, 0
	.set _ZN9rocsparseL22gebsrmvn_mxn_16_kernelILj60ELj15ELj2EfEEvi20rocsparse_direction_NS_24const_host_device_scalarIT2_EEPKiS6_PKS3_iiS8_S4_PS3_21rocsparse_index_base_b.private_seg_size, 0
	.set _ZN9rocsparseL22gebsrmvn_mxn_16_kernelILj60ELj15ELj2EfEEvi20rocsparse_direction_NS_24const_host_device_scalarIT2_EEPKiS6_PKS3_iiS8_S4_PS3_21rocsparse_index_base_b.uses_vcc, 1
	.set _ZN9rocsparseL22gebsrmvn_mxn_16_kernelILj60ELj15ELj2EfEEvi20rocsparse_direction_NS_24const_host_device_scalarIT2_EEPKiS6_PKS3_iiS8_S4_PS3_21rocsparse_index_base_b.uses_flat_scratch, 0
	.set _ZN9rocsparseL22gebsrmvn_mxn_16_kernelILj60ELj15ELj2EfEEvi20rocsparse_direction_NS_24const_host_device_scalarIT2_EEPKiS6_PKS3_iiS8_S4_PS3_21rocsparse_index_base_b.has_dyn_sized_stack, 0
	.set _ZN9rocsparseL22gebsrmvn_mxn_16_kernelILj60ELj15ELj2EfEEvi20rocsparse_direction_NS_24const_host_device_scalarIT2_EEPKiS6_PKS3_iiS8_S4_PS3_21rocsparse_index_base_b.has_recursion, 0
	.set _ZN9rocsparseL22gebsrmvn_mxn_16_kernelILj60ELj15ELj2EfEEvi20rocsparse_direction_NS_24const_host_device_scalarIT2_EEPKiS6_PKS3_iiS8_S4_PS3_21rocsparse_index_base_b.has_indirect_call, 0
	.section	.AMDGPU.csdata,"",@progbits
; Kernel info:
; codeLenInByte = 828
; TotalNumSgprs: 22
; NumVgprs: 9
; ScratchSize: 0
; MemoryBound: 0
; FloatMode: 240
; IeeeMode: 1
; LDSByteSize: 240 bytes/workgroup (compile time only)
; SGPRBlocks: 0
; VGPRBlocks: 0
; NumSGPRsForWavesPerEU: 22
; NumVGPRsForWavesPerEU: 9
; NamedBarCnt: 0
; Occupancy: 16
; WaveLimiterHint : 1
; COMPUTE_PGM_RSRC2:SCRATCH_EN: 0
; COMPUTE_PGM_RSRC2:USER_SGPR: 2
; COMPUTE_PGM_RSRC2:TRAP_HANDLER: 0
; COMPUTE_PGM_RSRC2:TGID_X_EN: 1
; COMPUTE_PGM_RSRC2:TGID_Y_EN: 0
; COMPUTE_PGM_RSRC2:TGID_Z_EN: 0
; COMPUTE_PGM_RSRC2:TIDIG_COMP_CNT: 0
	.section	.text._ZN9rocsparseL22gebsrmvn_mxn_16_kernelILj45ELj15ELj3EfEEvi20rocsparse_direction_NS_24const_host_device_scalarIT2_EEPKiS6_PKS3_iiS8_S4_PS3_21rocsparse_index_base_b,"axG",@progbits,_ZN9rocsparseL22gebsrmvn_mxn_16_kernelILj45ELj15ELj3EfEEvi20rocsparse_direction_NS_24const_host_device_scalarIT2_EEPKiS6_PKS3_iiS8_S4_PS3_21rocsparse_index_base_b,comdat
	.globl	_ZN9rocsparseL22gebsrmvn_mxn_16_kernelILj45ELj15ELj3EfEEvi20rocsparse_direction_NS_24const_host_device_scalarIT2_EEPKiS6_PKS3_iiS8_S4_PS3_21rocsparse_index_base_b ; -- Begin function _ZN9rocsparseL22gebsrmvn_mxn_16_kernelILj45ELj15ELj3EfEEvi20rocsparse_direction_NS_24const_host_device_scalarIT2_EEPKiS6_PKS3_iiS8_S4_PS3_21rocsparse_index_base_b
	.p2align	8
	.type	_ZN9rocsparseL22gebsrmvn_mxn_16_kernelILj45ELj15ELj3EfEEvi20rocsparse_direction_NS_24const_host_device_scalarIT2_EEPKiS6_PKS3_iiS8_S4_PS3_21rocsparse_index_base_b,@function
_ZN9rocsparseL22gebsrmvn_mxn_16_kernelILj45ELj15ELj3EfEEvi20rocsparse_direction_NS_24const_host_device_scalarIT2_EEPKiS6_PKS3_iiS8_S4_PS3_21rocsparse_index_base_b: ; @_ZN9rocsparseL22gebsrmvn_mxn_16_kernelILj45ELj15ELj3EfEEvi20rocsparse_direction_NS_24const_host_device_scalarIT2_EEPKiS6_PKS3_iiS8_S4_PS3_21rocsparse_index_base_b
; %bb.0:
	s_clause 0x2
	s_load_b64 s[14:15], s[0:1], 0x48
	s_load_b64 s[8:9], s[0:1], 0x8
	;; [unrolled: 1-line block ×3, first 2 shown]
	s_wait_kmcnt 0x0
	s_bitcmp1_b32 s15, 0
	s_cselect_b32 s4, -1, 0
	s_delay_alu instid0(SALU_CYCLE_1)
	s_and_b32 vcc_lo, exec_lo, s4
	s_xor_b32 s4, s4, -1
	s_cbranch_vccnz .LBB20_2
; %bb.1:
	s_load_b32 s8, s[8:9], 0x0
.LBB20_2:
	s_and_not1_b32 vcc_lo, exec_lo, s4
	s_cbranch_vccnz .LBB20_4
; %bb.3:
	s_load_b32 s2, s[2:3], 0x0
.LBB20_4:
	s_wait_kmcnt 0x0
	s_cmp_eq_f32 s8, 0
	s_cselect_b32 s3, -1, 0
	s_cmp_eq_f32 s2, 1.0
	s_cselect_b32 s4, -1, 0
	s_delay_alu instid0(SALU_CYCLE_1) | instskip(NEXT) | instid1(SALU_CYCLE_1)
	s_and_b32 s3, s3, s4
	s_and_b32 vcc_lo, exec_lo, s3
	s_cbranch_vccnz .LBB20_32
; %bb.5:
	v_mul_u32_u24_e32 v1, 0x5556, v0
	s_clause 0x1
	s_load_b32 s3, s[0:1], 0x4
	s_load_b64 s[4:5], s[0:1], 0x10
	v_and_b32_e32 v4, 0xffff, v0
	v_lshrrev_b32_e32 v1, 16, v1
	s_delay_alu instid0(VALU_DEP_1) | instskip(NEXT) | instid1(VALU_DEP_1)
	v_mul_lo_u16 v1, v1, 3
	v_sub_nc_u16 v1, v0, v1
	s_delay_alu instid0(VALU_DEP_1) | instskip(SKIP_3) | instid1(SALU_CYCLE_1)
	v_and_b32_e32 v3, 0xffff, v1
	s_wait_kmcnt 0x0
	s_cmp_lg_u32 s3, 1
	s_cselect_b32 s3, -1, 0
	s_and_b32 vcc_lo, exec_lo, s3
	v_mov_b32_e32 v2, v3
	s_cbranch_vccnz .LBB20_7
; %bb.6:
	v_mul_u32_u24_e32 v1, 0x1112, v4
	s_delay_alu instid0(VALU_DEP_1) | instskip(NEXT) | instid1(VALU_DEP_1)
	v_lshrrev_b32_e32 v1, 16, v1
	v_mul_lo_u16 v2, 0x56, v1
	s_delay_alu instid0(VALU_DEP_1) | instskip(NEXT) | instid1(VALU_DEP_1)
	v_lshrrev_b16 v2, 8, v2
	v_mul_lo_u16 v2, v2, 3
	s_delay_alu instid0(VALU_DEP_1) | instskip(NEXT) | instid1(VALU_DEP_1)
	v_sub_nc_u16 v1, v1, v2
	v_and_b32_e32 v2, 0xff, v1
.LBB20_7:
	s_bfe_u32 s6, ttmp6, 0x4000c
	s_and_b32 s7, ttmp6, 15
	s_add_co_i32 s6, s6, 1
	s_getreg_b32 s9, hwreg(HW_REG_IB_STS2, 6, 4)
	s_mul_i32 s6, ttmp9, s6
	v_mov_b32_e32 v1, 0
	s_add_co_i32 s7, s7, s6
	s_cmp_eq_u32 s9, 0
	s_cselect_b32 s12, ttmp9, s7
	s_delay_alu instid0(SALU_CYCLE_1) | instskip(NEXT) | instid1(SALU_CYCLE_1)
	s_ashr_i32 s13, s12, 31
	s_lshl_b64 s[6:7], s[12:13], 2
	s_delay_alu instid0(SALU_CYCLE_1)
	s_add_nc_u64 s[4:5], s[4:5], s[6:7]
	s_load_b64 s[18:19], s[4:5], 0x0
	s_load_b64 s[10:11], s[0:1], 0x40
	s_wait_kmcnt 0x0
	s_cmp_ge_i32 s18, s19
	s_cbranch_scc1 .LBB20_12
; %bb.8:
	s_clause 0x1
	s_load_b128 s[4:7], s[0:1], 0x18
	s_load_b64 s[16:17], s[0:1], 0x30
	v_mad_u32 v1, s18, 45, v0
	v_mul_u32_u24_e32 v4, 0x5b1, v4
	s_wait_xcnt 0x0
	s_mul_i32 s0, s14, 45
	s_sub_co_i32 s1, s18, s14
	s_delay_alu instid0(VALU_DEP_1) | instskip(NEXT) | instid1(VALU_DEP_3)
	v_lshrrev_b32_e32 v4, 16, v4
	v_subrev_nc_u32_e32 v5, s0, v1
	v_mov_b32_e32 v1, 0
	s_sub_co_i32 s0, s19, s14
	s_branch .LBB20_10
.LBB20_9:                               ;   in Loop: Header=BB20_10 Depth=1
	s_or_b32 exec_lo, exec_lo, s9
	v_add_nc_u32_e32 v5, 45, v5
	s_add_co_i32 s1, s1, 1
	s_delay_alu instid0(SALU_CYCLE_1)
	s_cmp_ge_i32 s1, s0
	s_cbranch_scc1 .LBB20_12
.LBB20_10:                              ; =>This Inner Loop Header: Depth=1
	v_add_nc_u32_e32 v6, s1, v4
	s_mov_b32 s9, exec_lo
	s_delay_alu instid0(VALU_DEP_1)
	v_cmpx_gt_i32_e64 s0, v6
	s_cbranch_execz .LBB20_9
; %bb.11:                               ;   in Loop: Header=BB20_10 Depth=1
	s_wait_kmcnt 0x0
	global_load_b32 v6, v6, s[4:5] scale_offset
	s_wait_loadcnt 0x0
	v_subrev_nc_u32_e32 v6, s14, v6
	s_delay_alu instid0(VALU_DEP_1)
	v_mad_u32 v6, v6, 3, v2
	global_load_b32 v7, v5, s[6:7] scale_offset
	global_load_b32 v8, v6, s[16:17] scale_offset
	s_wait_loadcnt 0x0
	v_fmac_f32_e32 v1, v7, v8
	s_branch .LBB20_9
.LBB20_12:
	v_lshlrev_b32_e32 v2, 2, v0
	s_and_b32 vcc_lo, exec_lo, s3
	ds_store_b32 v2, v1
	s_wait_dscnt 0x0
	s_barrier_signal -1
	s_barrier_wait -1
	s_cbranch_vccz .LBB20_20
; %bb.13:
	v_cmp_eq_u16_e32 vcc_lo, 0, v3
	s_and_saveexec_b32 s0, vcc_lo
	s_cbranch_execz .LBB20_15
; %bb.14:
	ds_load_2addr_b32 v[4:5], v2 offset1:2
	s_wait_dscnt 0x0
	v_add_f32_e32 v3, v5, v4
	ds_store_b32 v2, v3
.LBB20_15:
	s_or_b32 exec_lo, exec_lo, s0
	s_wait_dscnt 0x0
	s_barrier_signal -1
	s_barrier_wait -1
	s_and_saveexec_b32 s0, vcc_lo
	s_cbranch_execz .LBB20_17
; %bb.16:
	ds_load_2addr_b32 v[4:5], v2 offset1:1
	s_wait_dscnt 0x0
	v_add_f32_e32 v3, v5, v4
	ds_store_b32 v2, v3
.LBB20_17:
	s_or_b32 exec_lo, exec_lo, s0
	v_mov_b32_e32 v3, v1
	s_mov_b32 s0, exec_lo
	s_wait_dscnt 0x0
	s_barrier_signal -1
	s_barrier_wait -1
	v_cmpx_gt_u32_e32 15, v0
; %bb.18:
	v_lshl_add_u32 v3, v0, 3, v2
	ds_load_b32 v3, v3
; %bb.19:
	s_or_b32 exec_lo, exec_lo, s0
	v_cmp_gt_u32_e64 s0, 15, v0
	s_branch .LBB20_28
.LBB20_20:
                                        ; implicit-def: $vgpr3
	v_cmp_gt_u32_e64 s0, 15, v0
	s_cbranch_execz .LBB20_28
; %bb.21:
	v_cmp_lt_u32_e32 vcc_lo, 14, v0
	s_and_saveexec_b32 s1, s0
	s_cbranch_execz .LBB20_23
; %bb.22:
	ds_load_2addr_b32 v[4:5], v2 offset1:30
	s_wait_dscnt 0x0
	v_add_f32_e32 v3, v5, v4
	ds_store_b32 v2, v3
.LBB20_23:
	s_or_b32 exec_lo, exec_lo, s1
	s_wait_dscnt 0x0
	s_barrier_signal -1
	s_barrier_wait -1
	s_and_saveexec_b32 s0, vcc_lo
	s_delay_alu instid0(SALU_CYCLE_1)
	s_xor_b32 s0, exec_lo, s0
; %bb.24:
                                        ; implicit-def: $vgpr2
; %bb.25:
	s_delay_alu instid0(SALU_CYCLE_1)
	s_and_not1_saveexec_b32 s0, s0
	s_cbranch_execz .LBB20_27
; %bb.26:
	ds_load_2addr_b32 v[4:5], v2 offset1:15
	s_wait_dscnt 0x0
	v_add_f32_e32 v1, v5, v4
	ds_store_b32 v2, v1
	s_wait_dscnt 0x0
	ds_load_b32 v1, v2
.LBB20_27:
	s_or_b32 exec_lo, exec_lo, s0
	s_wait_dscnt 0x0
	v_mov_b32_e32 v3, v1
.LBB20_28:
	s_mov_b32 s0, exec_lo
	v_cmpx_gt_u32_e32 15, v0
	s_cbranch_execz .LBB20_32
; %bb.29:
	v_mad_u32 v0, s12, 15, v0
	s_wait_dscnt 0x0
	v_mul_f32_e32 v1, s8, v3
	s_cmp_eq_f32 s2, 0
	s_mov_b32 s0, 0
	s_cbranch_scc0 .LBB20_33
; %bb.30:
	global_store_b32 v0, v1, s[10:11] scale_offset
	s_and_not1_b32 vcc_lo, exec_lo, s0
	s_cbranch_vccnz .LBB20_32
.LBB20_31:
	global_load_b32 v2, v0, s[10:11] scale_offset
	s_wait_loadcnt 0x0
	s_wait_xcnt 0x1
	v_fmac_f32_e32 v1, s2, v2
	global_store_b32 v0, v1, s[10:11] scale_offset
.LBB20_32:
	s_endpgm
.LBB20_33:
	s_branch .LBB20_31
	.section	.rodata,"a",@progbits
	.p2align	6, 0x0
	.amdhsa_kernel _ZN9rocsparseL22gebsrmvn_mxn_16_kernelILj45ELj15ELj3EfEEvi20rocsparse_direction_NS_24const_host_device_scalarIT2_EEPKiS6_PKS3_iiS8_S4_PS3_21rocsparse_index_base_b
		.amdhsa_group_segment_fixed_size 180
		.amdhsa_private_segment_fixed_size 0
		.amdhsa_kernarg_size 80
		.amdhsa_user_sgpr_count 2
		.amdhsa_user_sgpr_dispatch_ptr 0
		.amdhsa_user_sgpr_queue_ptr 0
		.amdhsa_user_sgpr_kernarg_segment_ptr 1
		.amdhsa_user_sgpr_dispatch_id 0
		.amdhsa_user_sgpr_kernarg_preload_length 0
		.amdhsa_user_sgpr_kernarg_preload_offset 0
		.amdhsa_user_sgpr_private_segment_size 0
		.amdhsa_wavefront_size32 1
		.amdhsa_uses_dynamic_stack 0
		.amdhsa_enable_private_segment 0
		.amdhsa_system_sgpr_workgroup_id_x 1
		.amdhsa_system_sgpr_workgroup_id_y 0
		.amdhsa_system_sgpr_workgroup_id_z 0
		.amdhsa_system_sgpr_workgroup_info 0
		.amdhsa_system_vgpr_workitem_id 0
		.amdhsa_next_free_vgpr 9
		.amdhsa_next_free_sgpr 20
		.amdhsa_named_barrier_count 0
		.amdhsa_reserve_vcc 1
		.amdhsa_float_round_mode_32 0
		.amdhsa_float_round_mode_16_64 0
		.amdhsa_float_denorm_mode_32 3
		.amdhsa_float_denorm_mode_16_64 3
		.amdhsa_fp16_overflow 0
		.amdhsa_memory_ordered 1
		.amdhsa_forward_progress 1
		.amdhsa_inst_pref_size 8
		.amdhsa_round_robin_scheduling 0
		.amdhsa_exception_fp_ieee_invalid_op 0
		.amdhsa_exception_fp_denorm_src 0
		.amdhsa_exception_fp_ieee_div_zero 0
		.amdhsa_exception_fp_ieee_overflow 0
		.amdhsa_exception_fp_ieee_underflow 0
		.amdhsa_exception_fp_ieee_inexact 0
		.amdhsa_exception_int_div_zero 0
	.end_amdhsa_kernel
	.section	.text._ZN9rocsparseL22gebsrmvn_mxn_16_kernelILj45ELj15ELj3EfEEvi20rocsparse_direction_NS_24const_host_device_scalarIT2_EEPKiS6_PKS3_iiS8_S4_PS3_21rocsparse_index_base_b,"axG",@progbits,_ZN9rocsparseL22gebsrmvn_mxn_16_kernelILj45ELj15ELj3EfEEvi20rocsparse_direction_NS_24const_host_device_scalarIT2_EEPKiS6_PKS3_iiS8_S4_PS3_21rocsparse_index_base_b,comdat
.Lfunc_end20:
	.size	_ZN9rocsparseL22gebsrmvn_mxn_16_kernelILj45ELj15ELj3EfEEvi20rocsparse_direction_NS_24const_host_device_scalarIT2_EEPKiS6_PKS3_iiS8_S4_PS3_21rocsparse_index_base_b, .Lfunc_end20-_ZN9rocsparseL22gebsrmvn_mxn_16_kernelILj45ELj15ELj3EfEEvi20rocsparse_direction_NS_24const_host_device_scalarIT2_EEPKiS6_PKS3_iiS8_S4_PS3_21rocsparse_index_base_b
                                        ; -- End function
	.set _ZN9rocsparseL22gebsrmvn_mxn_16_kernelILj45ELj15ELj3EfEEvi20rocsparse_direction_NS_24const_host_device_scalarIT2_EEPKiS6_PKS3_iiS8_S4_PS3_21rocsparse_index_base_b.num_vgpr, 9
	.set _ZN9rocsparseL22gebsrmvn_mxn_16_kernelILj45ELj15ELj3EfEEvi20rocsparse_direction_NS_24const_host_device_scalarIT2_EEPKiS6_PKS3_iiS8_S4_PS3_21rocsparse_index_base_b.num_agpr, 0
	.set _ZN9rocsparseL22gebsrmvn_mxn_16_kernelILj45ELj15ELj3EfEEvi20rocsparse_direction_NS_24const_host_device_scalarIT2_EEPKiS6_PKS3_iiS8_S4_PS3_21rocsparse_index_base_b.numbered_sgpr, 20
	.set _ZN9rocsparseL22gebsrmvn_mxn_16_kernelILj45ELj15ELj3EfEEvi20rocsparse_direction_NS_24const_host_device_scalarIT2_EEPKiS6_PKS3_iiS8_S4_PS3_21rocsparse_index_base_b.num_named_barrier, 0
	.set _ZN9rocsparseL22gebsrmvn_mxn_16_kernelILj45ELj15ELj3EfEEvi20rocsparse_direction_NS_24const_host_device_scalarIT2_EEPKiS6_PKS3_iiS8_S4_PS3_21rocsparse_index_base_b.private_seg_size, 0
	.set _ZN9rocsparseL22gebsrmvn_mxn_16_kernelILj45ELj15ELj3EfEEvi20rocsparse_direction_NS_24const_host_device_scalarIT2_EEPKiS6_PKS3_iiS8_S4_PS3_21rocsparse_index_base_b.uses_vcc, 1
	.set _ZN9rocsparseL22gebsrmvn_mxn_16_kernelILj45ELj15ELj3EfEEvi20rocsparse_direction_NS_24const_host_device_scalarIT2_EEPKiS6_PKS3_iiS8_S4_PS3_21rocsparse_index_base_b.uses_flat_scratch, 0
	.set _ZN9rocsparseL22gebsrmvn_mxn_16_kernelILj45ELj15ELj3EfEEvi20rocsparse_direction_NS_24const_host_device_scalarIT2_EEPKiS6_PKS3_iiS8_S4_PS3_21rocsparse_index_base_b.has_dyn_sized_stack, 0
	.set _ZN9rocsparseL22gebsrmvn_mxn_16_kernelILj45ELj15ELj3EfEEvi20rocsparse_direction_NS_24const_host_device_scalarIT2_EEPKiS6_PKS3_iiS8_S4_PS3_21rocsparse_index_base_b.has_recursion, 0
	.set _ZN9rocsparseL22gebsrmvn_mxn_16_kernelILj45ELj15ELj3EfEEvi20rocsparse_direction_NS_24const_host_device_scalarIT2_EEPKiS6_PKS3_iiS8_S4_PS3_21rocsparse_index_base_b.has_indirect_call, 0
	.section	.AMDGPU.csdata,"",@progbits
; Kernel info:
; codeLenInByte = 976
; TotalNumSgprs: 22
; NumVgprs: 9
; ScratchSize: 0
; MemoryBound: 0
; FloatMode: 240
; IeeeMode: 1
; LDSByteSize: 180 bytes/workgroup (compile time only)
; SGPRBlocks: 0
; VGPRBlocks: 0
; NumSGPRsForWavesPerEU: 22
; NumVGPRsForWavesPerEU: 9
; NamedBarCnt: 0
; Occupancy: 16
; WaveLimiterHint : 1
; COMPUTE_PGM_RSRC2:SCRATCH_EN: 0
; COMPUTE_PGM_RSRC2:USER_SGPR: 2
; COMPUTE_PGM_RSRC2:TRAP_HANDLER: 0
; COMPUTE_PGM_RSRC2:TGID_X_EN: 1
; COMPUTE_PGM_RSRC2:TGID_Y_EN: 0
; COMPUTE_PGM_RSRC2:TGID_Z_EN: 0
; COMPUTE_PGM_RSRC2:TIDIG_COMP_CNT: 0
	.section	.text._ZN9rocsparseL22gebsrmvn_mxn_16_kernelILj60ELj15ELj4EfEEvi20rocsparse_direction_NS_24const_host_device_scalarIT2_EEPKiS6_PKS3_iiS8_S4_PS3_21rocsparse_index_base_b,"axG",@progbits,_ZN9rocsparseL22gebsrmvn_mxn_16_kernelILj60ELj15ELj4EfEEvi20rocsparse_direction_NS_24const_host_device_scalarIT2_EEPKiS6_PKS3_iiS8_S4_PS3_21rocsparse_index_base_b,comdat
	.globl	_ZN9rocsparseL22gebsrmvn_mxn_16_kernelILj60ELj15ELj4EfEEvi20rocsparse_direction_NS_24const_host_device_scalarIT2_EEPKiS6_PKS3_iiS8_S4_PS3_21rocsparse_index_base_b ; -- Begin function _ZN9rocsparseL22gebsrmvn_mxn_16_kernelILj60ELj15ELj4EfEEvi20rocsparse_direction_NS_24const_host_device_scalarIT2_EEPKiS6_PKS3_iiS8_S4_PS3_21rocsparse_index_base_b
	.p2align	8
	.type	_ZN9rocsparseL22gebsrmvn_mxn_16_kernelILj60ELj15ELj4EfEEvi20rocsparse_direction_NS_24const_host_device_scalarIT2_EEPKiS6_PKS3_iiS8_S4_PS3_21rocsparse_index_base_b,@function
_ZN9rocsparseL22gebsrmvn_mxn_16_kernelILj60ELj15ELj4EfEEvi20rocsparse_direction_NS_24const_host_device_scalarIT2_EEPKiS6_PKS3_iiS8_S4_PS3_21rocsparse_index_base_b: ; @_ZN9rocsparseL22gebsrmvn_mxn_16_kernelILj60ELj15ELj4EfEEvi20rocsparse_direction_NS_24const_host_device_scalarIT2_EEPKiS6_PKS3_iiS8_S4_PS3_21rocsparse_index_base_b
; %bb.0:
	s_clause 0x2
	s_load_b64 s[14:15], s[0:1], 0x48
	s_load_b64 s[8:9], s[0:1], 0x8
	;; [unrolled: 1-line block ×3, first 2 shown]
	s_wait_kmcnt 0x0
	s_bitcmp1_b32 s15, 0
	s_cselect_b32 s4, -1, 0
	s_delay_alu instid0(SALU_CYCLE_1)
	s_and_b32 vcc_lo, exec_lo, s4
	s_xor_b32 s4, s4, -1
	s_cbranch_vccnz .LBB21_2
; %bb.1:
	s_load_b32 s8, s[8:9], 0x0
.LBB21_2:
	s_and_not1_b32 vcc_lo, exec_lo, s4
	s_cbranch_vccnz .LBB21_4
; %bb.3:
	s_load_b32 s2, s[2:3], 0x0
.LBB21_4:
	s_wait_kmcnt 0x0
	s_cmp_eq_f32 s8, 0
	s_cselect_b32 s3, -1, 0
	s_cmp_eq_f32 s2, 1.0
	s_cselect_b32 s4, -1, 0
	s_delay_alu instid0(SALU_CYCLE_1) | instskip(NEXT) | instid1(SALU_CYCLE_1)
	s_and_b32 s3, s3, s4
	s_and_b32 vcc_lo, exec_lo, s3
	s_cbranch_vccnz .LBB21_32
; %bb.5:
	s_clause 0x1
	s_load_b32 s3, s[0:1], 0x4
	s_load_b64 s[4:5], s[0:1], 0x10
	v_and_b32_e32 v2, 3, v0
	s_delay_alu instid0(VALU_DEP_1) | instskip(SKIP_3) | instid1(SALU_CYCLE_1)
	v_mov_b32_e32 v3, v2
	s_wait_kmcnt 0x0
	s_cmp_lg_u32 s3, 1
	s_cselect_b32 s3, -1, 0
	s_and_b32 vcc_lo, exec_lo, s3
	s_cbranch_vccnz .LBB21_7
; %bb.6:
	v_mul_u32_u24_e32 v1, 0x1112, v0
	s_delay_alu instid0(VALU_DEP_1)
	v_bfe_u32 v3, v1, 16, 2
.LBB21_7:
	s_bfe_u32 s6, ttmp6, 0x4000c
	s_and_b32 s7, ttmp6, 15
	s_add_co_i32 s6, s6, 1
	s_getreg_b32 s9, hwreg(HW_REG_IB_STS2, 6, 4)
	s_mul_i32 s6, ttmp9, s6
	v_mov_b32_e32 v1, 0
	s_add_co_i32 s7, s7, s6
	s_cmp_eq_u32 s9, 0
	s_cselect_b32 s12, ttmp9, s7
	s_delay_alu instid0(SALU_CYCLE_1) | instskip(NEXT) | instid1(SALU_CYCLE_1)
	s_ashr_i32 s13, s12, 31
	s_lshl_b64 s[6:7], s[12:13], 2
	s_delay_alu instid0(SALU_CYCLE_1)
	s_add_nc_u64 s[4:5], s[4:5], s[6:7]
	s_load_b64 s[18:19], s[4:5], 0x0
	s_load_b64 s[10:11], s[0:1], 0x40
	s_wait_kmcnt 0x0
	s_cmp_ge_i32 s18, s19
	s_cbranch_scc1 .LBB21_12
; %bb.8:
	s_clause 0x1
	s_load_b128 s[4:7], s[0:1], 0x18
	s_load_b64 s[16:17], s[0:1], 0x30
	v_mad_u32 v1, s18, 60, v0
	v_mul_u32_u24_e32 v4, 0x445, v0
	s_wait_xcnt 0x0
	s_mul_i32 s0, s14, 60
	s_sub_co_i32 s1, s18, s14
	s_delay_alu instid0(VALU_DEP_1) | instskip(NEXT) | instid1(VALU_DEP_3)
	v_lshrrev_b32_e32 v4, 16, v4
	v_subrev_nc_u32_e32 v5, s0, v1
	v_mov_b32_e32 v1, 0
	s_sub_co_i32 s0, s19, s14
	s_branch .LBB21_10
.LBB21_9:                               ;   in Loop: Header=BB21_10 Depth=1
	s_or_b32 exec_lo, exec_lo, s9
	v_add_nc_u32_e32 v5, 60, v5
	s_add_co_i32 s1, s1, 1
	s_delay_alu instid0(SALU_CYCLE_1)
	s_cmp_ge_i32 s1, s0
	s_cbranch_scc1 .LBB21_12
.LBB21_10:                              ; =>This Inner Loop Header: Depth=1
	v_add_nc_u32_e32 v6, s1, v4
	s_mov_b32 s9, exec_lo
	s_delay_alu instid0(VALU_DEP_1)
	v_cmpx_gt_i32_e64 s0, v6
	s_cbranch_execz .LBB21_9
; %bb.11:                               ;   in Loop: Header=BB21_10 Depth=1
	s_wait_kmcnt 0x0
	global_load_b32 v6, v6, s[4:5] scale_offset
	s_wait_loadcnt 0x0
	v_subrev_nc_u32_e32 v6, s14, v6
	s_delay_alu instid0(VALU_DEP_1)
	v_lshl_or_b32 v6, v6, 2, v3
	global_load_b32 v7, v5, s[6:7] scale_offset
	global_load_b32 v8, v6, s[16:17] scale_offset
	s_wait_loadcnt 0x0
	v_fmac_f32_e32 v1, v7, v8
	s_branch .LBB21_9
.LBB21_12:
	v_lshlrev_b32_e32 v3, 2, v0
	s_and_b32 vcc_lo, exec_lo, s3
	ds_store_b32 v3, v1
	s_wait_dscnt 0x0
	s_barrier_signal -1
	s_barrier_wait -1
	s_cbranch_vccz .LBB21_20
; %bb.13:
	s_mov_b32 s0, exec_lo
	v_cmpx_gt_u32_e32 2, v2
	s_cbranch_execz .LBB21_15
; %bb.14:
	ds_load_2addr_b32 v[4:5], v3 offset1:2
	s_wait_dscnt 0x0
	v_add_f32_e32 v4, v5, v4
	ds_store_b32 v3, v4
.LBB21_15:
	s_or_b32 exec_lo, exec_lo, s0
	s_delay_alu instid0(SALU_CYCLE_1)
	s_mov_b32 s0, exec_lo
	s_wait_dscnt 0x0
	s_barrier_signal -1
	s_barrier_wait -1
	v_cmpx_eq_u32_e32 0, v2
	s_cbranch_execz .LBB21_17
; %bb.16:
	ds_load_2addr_b32 v[4:5], v3 offset1:1
	s_wait_dscnt 0x0
	v_add_f32_e32 v2, v5, v4
	ds_store_b32 v3, v2
.LBB21_17:
	s_or_b32 exec_lo, exec_lo, s0
	v_mov_b32_e32 v2, v1
	s_mov_b32 s0, exec_lo
	s_wait_dscnt 0x0
	s_barrier_signal -1
	s_barrier_wait -1
	v_cmpx_gt_u32_e32 15, v0
; %bb.18:
	v_mad_u32_u24 v2, v0, 12, v3
	ds_load_b32 v2, v2
; %bb.19:
	s_or_b32 exec_lo, exec_lo, s0
	s_branch .LBB21_28
.LBB21_20:
                                        ; implicit-def: $vgpr2
	s_cbranch_execz .LBB21_28
; %bb.21:
	s_mov_b32 s0, exec_lo
	v_cmpx_gt_u32_e32 30, v0
	s_cbranch_execz .LBB21_23
; %bb.22:
	ds_load_2addr_b32 v[4:5], v3 offset1:30
	s_wait_dscnt 0x0
	v_add_f32_e32 v2, v5, v4
	ds_store_b32 v3, v2
.LBB21_23:
	s_or_b32 exec_lo, exec_lo, s0
	s_delay_alu instid0(SALU_CYCLE_1)
	s_mov_b32 s0, exec_lo
	s_wait_dscnt 0x0
	v_cmpx_lt_u32_e32 14, v0
	s_xor_b32 s0, exec_lo, s0
; %bb.24:
                                        ; implicit-def: $vgpr3
; %bb.25:
	s_delay_alu instid0(SALU_CYCLE_1)
	s_and_not1_saveexec_b32 s0, s0
	s_cbranch_execz .LBB21_27
; %bb.26:
	ds_load_2addr_b32 v[4:5], v3 offset1:15
	s_wait_dscnt 0x0
	v_add_f32_e32 v1, v5, v4
	ds_store_b32 v3, v1
	s_wait_dscnt 0x0
	ds_load_b32 v1, v3
.LBB21_27:
	s_or_b32 exec_lo, exec_lo, s0
	s_wait_dscnt 0x0
	v_mov_b32_e32 v2, v1
.LBB21_28:
	s_mov_b32 s0, exec_lo
	v_cmpx_gt_u32_e32 15, v0
	s_cbranch_execz .LBB21_32
; %bb.29:
	v_mad_u32 v0, s12, 15, v0
	s_wait_dscnt 0x0
	v_mul_f32_e32 v1, s8, v2
	s_cmp_eq_f32 s2, 0
	s_mov_b32 s0, 0
	s_cbranch_scc0 .LBB21_33
; %bb.30:
	global_store_b32 v0, v1, s[10:11] scale_offset
	s_and_not1_b32 vcc_lo, exec_lo, s0
	s_cbranch_vccnz .LBB21_32
.LBB21_31:
	global_load_b32 v2, v0, s[10:11] scale_offset
	s_wait_loadcnt 0x0
	s_wait_xcnt 0x1
	v_fmac_f32_e32 v1, s2, v2
	global_store_b32 v0, v1, s[10:11] scale_offset
.LBB21_32:
	s_endpgm
.LBB21_33:
	s_branch .LBB21_31
	.section	.rodata,"a",@progbits
	.p2align	6, 0x0
	.amdhsa_kernel _ZN9rocsparseL22gebsrmvn_mxn_16_kernelILj60ELj15ELj4EfEEvi20rocsparse_direction_NS_24const_host_device_scalarIT2_EEPKiS6_PKS3_iiS8_S4_PS3_21rocsparse_index_base_b
		.amdhsa_group_segment_fixed_size 240
		.amdhsa_private_segment_fixed_size 0
		.amdhsa_kernarg_size 80
		.amdhsa_user_sgpr_count 2
		.amdhsa_user_sgpr_dispatch_ptr 0
		.amdhsa_user_sgpr_queue_ptr 0
		.amdhsa_user_sgpr_kernarg_segment_ptr 1
		.amdhsa_user_sgpr_dispatch_id 0
		.amdhsa_user_sgpr_kernarg_preload_length 0
		.amdhsa_user_sgpr_kernarg_preload_offset 0
		.amdhsa_user_sgpr_private_segment_size 0
		.amdhsa_wavefront_size32 1
		.amdhsa_uses_dynamic_stack 0
		.amdhsa_enable_private_segment 0
		.amdhsa_system_sgpr_workgroup_id_x 1
		.amdhsa_system_sgpr_workgroup_id_y 0
		.amdhsa_system_sgpr_workgroup_id_z 0
		.amdhsa_system_sgpr_workgroup_info 0
		.amdhsa_system_vgpr_workitem_id 0
		.amdhsa_next_free_vgpr 9
		.amdhsa_next_free_sgpr 20
		.amdhsa_named_barrier_count 0
		.amdhsa_reserve_vcc 1
		.amdhsa_float_round_mode_32 0
		.amdhsa_float_round_mode_16_64 0
		.amdhsa_float_denorm_mode_32 3
		.amdhsa_float_denorm_mode_16_64 3
		.amdhsa_fp16_overflow 0
		.amdhsa_memory_ordered 1
		.amdhsa_forward_progress 1
		.amdhsa_inst_pref_size 7
		.amdhsa_round_robin_scheduling 0
		.amdhsa_exception_fp_ieee_invalid_op 0
		.amdhsa_exception_fp_denorm_src 0
		.amdhsa_exception_fp_ieee_div_zero 0
		.amdhsa_exception_fp_ieee_overflow 0
		.amdhsa_exception_fp_ieee_underflow 0
		.amdhsa_exception_fp_ieee_inexact 0
		.amdhsa_exception_int_div_zero 0
	.end_amdhsa_kernel
	.section	.text._ZN9rocsparseL22gebsrmvn_mxn_16_kernelILj60ELj15ELj4EfEEvi20rocsparse_direction_NS_24const_host_device_scalarIT2_EEPKiS6_PKS3_iiS8_S4_PS3_21rocsparse_index_base_b,"axG",@progbits,_ZN9rocsparseL22gebsrmvn_mxn_16_kernelILj60ELj15ELj4EfEEvi20rocsparse_direction_NS_24const_host_device_scalarIT2_EEPKiS6_PKS3_iiS8_S4_PS3_21rocsparse_index_base_b,comdat
.Lfunc_end21:
	.size	_ZN9rocsparseL22gebsrmvn_mxn_16_kernelILj60ELj15ELj4EfEEvi20rocsparse_direction_NS_24const_host_device_scalarIT2_EEPKiS6_PKS3_iiS8_S4_PS3_21rocsparse_index_base_b, .Lfunc_end21-_ZN9rocsparseL22gebsrmvn_mxn_16_kernelILj60ELj15ELj4EfEEvi20rocsparse_direction_NS_24const_host_device_scalarIT2_EEPKiS6_PKS3_iiS8_S4_PS3_21rocsparse_index_base_b
                                        ; -- End function
	.set _ZN9rocsparseL22gebsrmvn_mxn_16_kernelILj60ELj15ELj4EfEEvi20rocsparse_direction_NS_24const_host_device_scalarIT2_EEPKiS6_PKS3_iiS8_S4_PS3_21rocsparse_index_base_b.num_vgpr, 9
	.set _ZN9rocsparseL22gebsrmvn_mxn_16_kernelILj60ELj15ELj4EfEEvi20rocsparse_direction_NS_24const_host_device_scalarIT2_EEPKiS6_PKS3_iiS8_S4_PS3_21rocsparse_index_base_b.num_agpr, 0
	.set _ZN9rocsparseL22gebsrmvn_mxn_16_kernelILj60ELj15ELj4EfEEvi20rocsparse_direction_NS_24const_host_device_scalarIT2_EEPKiS6_PKS3_iiS8_S4_PS3_21rocsparse_index_base_b.numbered_sgpr, 20
	.set _ZN9rocsparseL22gebsrmvn_mxn_16_kernelILj60ELj15ELj4EfEEvi20rocsparse_direction_NS_24const_host_device_scalarIT2_EEPKiS6_PKS3_iiS8_S4_PS3_21rocsparse_index_base_b.num_named_barrier, 0
	.set _ZN9rocsparseL22gebsrmvn_mxn_16_kernelILj60ELj15ELj4EfEEvi20rocsparse_direction_NS_24const_host_device_scalarIT2_EEPKiS6_PKS3_iiS8_S4_PS3_21rocsparse_index_base_b.private_seg_size, 0
	.set _ZN9rocsparseL22gebsrmvn_mxn_16_kernelILj60ELj15ELj4EfEEvi20rocsparse_direction_NS_24const_host_device_scalarIT2_EEPKiS6_PKS3_iiS8_S4_PS3_21rocsparse_index_base_b.uses_vcc, 1
	.set _ZN9rocsparseL22gebsrmvn_mxn_16_kernelILj60ELj15ELj4EfEEvi20rocsparse_direction_NS_24const_host_device_scalarIT2_EEPKiS6_PKS3_iiS8_S4_PS3_21rocsparse_index_base_b.uses_flat_scratch, 0
	.set _ZN9rocsparseL22gebsrmvn_mxn_16_kernelILj60ELj15ELj4EfEEvi20rocsparse_direction_NS_24const_host_device_scalarIT2_EEPKiS6_PKS3_iiS8_S4_PS3_21rocsparse_index_base_b.has_dyn_sized_stack, 0
	.set _ZN9rocsparseL22gebsrmvn_mxn_16_kernelILj60ELj15ELj4EfEEvi20rocsparse_direction_NS_24const_host_device_scalarIT2_EEPKiS6_PKS3_iiS8_S4_PS3_21rocsparse_index_base_b.has_recursion, 0
	.set _ZN9rocsparseL22gebsrmvn_mxn_16_kernelILj60ELj15ELj4EfEEvi20rocsparse_direction_NS_24const_host_device_scalarIT2_EEPKiS6_PKS3_iiS8_S4_PS3_21rocsparse_index_base_b.has_indirect_call, 0
	.section	.AMDGPU.csdata,"",@progbits
; Kernel info:
; codeLenInByte = 872
; TotalNumSgprs: 22
; NumVgprs: 9
; ScratchSize: 0
; MemoryBound: 0
; FloatMode: 240
; IeeeMode: 1
; LDSByteSize: 240 bytes/workgroup (compile time only)
; SGPRBlocks: 0
; VGPRBlocks: 0
; NumSGPRsForWavesPerEU: 22
; NumVGPRsForWavesPerEU: 9
; NamedBarCnt: 0
; Occupancy: 16
; WaveLimiterHint : 1
; COMPUTE_PGM_RSRC2:SCRATCH_EN: 0
; COMPUTE_PGM_RSRC2:USER_SGPR: 2
; COMPUTE_PGM_RSRC2:TRAP_HANDLER: 0
; COMPUTE_PGM_RSRC2:TGID_X_EN: 1
; COMPUTE_PGM_RSRC2:TGID_Y_EN: 0
; COMPUTE_PGM_RSRC2:TGID_Z_EN: 0
; COMPUTE_PGM_RSRC2:TIDIG_COMP_CNT: 0
	.section	.text._ZN9rocsparseL22gebsrmvn_mxn_16_kernelILj75ELj15ELj5EfEEvi20rocsparse_direction_NS_24const_host_device_scalarIT2_EEPKiS6_PKS3_iiS8_S4_PS3_21rocsparse_index_base_b,"axG",@progbits,_ZN9rocsparseL22gebsrmvn_mxn_16_kernelILj75ELj15ELj5EfEEvi20rocsparse_direction_NS_24const_host_device_scalarIT2_EEPKiS6_PKS3_iiS8_S4_PS3_21rocsparse_index_base_b,comdat
	.globl	_ZN9rocsparseL22gebsrmvn_mxn_16_kernelILj75ELj15ELj5EfEEvi20rocsparse_direction_NS_24const_host_device_scalarIT2_EEPKiS6_PKS3_iiS8_S4_PS3_21rocsparse_index_base_b ; -- Begin function _ZN9rocsparseL22gebsrmvn_mxn_16_kernelILj75ELj15ELj5EfEEvi20rocsparse_direction_NS_24const_host_device_scalarIT2_EEPKiS6_PKS3_iiS8_S4_PS3_21rocsparse_index_base_b
	.p2align	8
	.type	_ZN9rocsparseL22gebsrmvn_mxn_16_kernelILj75ELj15ELj5EfEEvi20rocsparse_direction_NS_24const_host_device_scalarIT2_EEPKiS6_PKS3_iiS8_S4_PS3_21rocsparse_index_base_b,@function
_ZN9rocsparseL22gebsrmvn_mxn_16_kernelILj75ELj15ELj5EfEEvi20rocsparse_direction_NS_24const_host_device_scalarIT2_EEPKiS6_PKS3_iiS8_S4_PS3_21rocsparse_index_base_b: ; @_ZN9rocsparseL22gebsrmvn_mxn_16_kernelILj75ELj15ELj5EfEEvi20rocsparse_direction_NS_24const_host_device_scalarIT2_EEPKiS6_PKS3_iiS8_S4_PS3_21rocsparse_index_base_b
; %bb.0:
	s_clause 0x2
	s_load_b64 s[14:15], s[0:1], 0x48
	s_load_b64 s[8:9], s[0:1], 0x8
	;; [unrolled: 1-line block ×3, first 2 shown]
	s_wait_kmcnt 0x0
	s_bitcmp1_b32 s15, 0
	s_cselect_b32 s4, -1, 0
	s_delay_alu instid0(SALU_CYCLE_1)
	s_and_b32 vcc_lo, exec_lo, s4
	s_xor_b32 s4, s4, -1
	s_cbranch_vccnz .LBB22_2
; %bb.1:
	s_load_b32 s8, s[8:9], 0x0
.LBB22_2:
	s_and_not1_b32 vcc_lo, exec_lo, s4
	s_cbranch_vccnz .LBB22_4
; %bb.3:
	s_load_b32 s2, s[2:3], 0x0
.LBB22_4:
	s_wait_kmcnt 0x0
	s_cmp_eq_f32 s8, 0
	s_cselect_b32 s3, -1, 0
	s_cmp_eq_f32 s2, 1.0
	s_cselect_b32 s4, -1, 0
	s_delay_alu instid0(SALU_CYCLE_1) | instskip(NEXT) | instid1(SALU_CYCLE_1)
	s_and_b32 s3, s3, s4
	s_and_b32 vcc_lo, exec_lo, s3
	s_cbranch_vccnz .LBB22_36
; %bb.5:
	v_mul_u32_u24_e32 v1, 0x3334, v0
	s_clause 0x1
	s_load_b32 s3, s[0:1], 0x4
	s_load_b64 s[4:5], s[0:1], 0x10
	v_and_b32_e32 v4, 0xffff, v0
	v_lshrrev_b32_e32 v1, 16, v1
	s_delay_alu instid0(VALU_DEP_1) | instskip(NEXT) | instid1(VALU_DEP_1)
	v_mul_lo_u16 v1, v1, 5
	v_sub_nc_u16 v1, v0, v1
	s_delay_alu instid0(VALU_DEP_1) | instskip(SKIP_3) | instid1(SALU_CYCLE_1)
	v_and_b32_e32 v3, 0xffff, v1
	s_wait_kmcnt 0x0
	s_cmp_lg_u32 s3, 1
	s_cselect_b32 s3, -1, 0
	s_and_b32 vcc_lo, exec_lo, s3
	v_mov_b32_e32 v2, v3
	s_cbranch_vccnz .LBB22_7
; %bb.6:
	v_mul_u32_u24_e32 v1, 0x1112, v4
	s_delay_alu instid0(VALU_DEP_1) | instskip(NEXT) | instid1(VALU_DEP_1)
	v_lshrrev_b32_e32 v1, 16, v1
	v_mul_lo_u16 v2, v1, 52
	s_delay_alu instid0(VALU_DEP_1) | instskip(NEXT) | instid1(VALU_DEP_1)
	v_lshrrev_b16 v2, 8, v2
	v_mul_lo_u16 v2, v2, 5
	s_delay_alu instid0(VALU_DEP_1) | instskip(NEXT) | instid1(VALU_DEP_1)
	v_sub_nc_u16 v1, v1, v2
	v_and_b32_e32 v2, 0xff, v1
.LBB22_7:
	s_bfe_u32 s6, ttmp6, 0x4000c
	s_and_b32 s7, ttmp6, 15
	s_add_co_i32 s6, s6, 1
	s_getreg_b32 s9, hwreg(HW_REG_IB_STS2, 6, 4)
	s_mul_i32 s6, ttmp9, s6
	v_mov_b32_e32 v1, 0
	s_add_co_i32 s7, s7, s6
	s_cmp_eq_u32 s9, 0
	s_cselect_b32 s12, ttmp9, s7
	s_delay_alu instid0(SALU_CYCLE_1) | instskip(NEXT) | instid1(SALU_CYCLE_1)
	s_ashr_i32 s13, s12, 31
	s_lshl_b64 s[6:7], s[12:13], 2
	s_delay_alu instid0(SALU_CYCLE_1)
	s_add_nc_u64 s[4:5], s[4:5], s[6:7]
	s_load_b64 s[18:19], s[4:5], 0x0
	s_load_b64 s[10:11], s[0:1], 0x40
	s_wait_kmcnt 0x0
	s_cmp_ge_i32 s18, s19
	s_cbranch_scc1 .LBB22_12
; %bb.8:
	s_clause 0x1
	s_load_b128 s[4:7], s[0:1], 0x18
	s_load_b64 s[16:17], s[0:1], 0x30
	v_mad_u32 v1, 0x4b, s18, v0
	v_mul_u32_u24_e32 v4, 0x36a, v4
	s_wait_xcnt 0x0
	s_mul_i32 s0, s14, 0x4b
	s_sub_co_i32 s1, s18, s14
	s_delay_alu instid0(VALU_DEP_1) | instskip(NEXT) | instid1(VALU_DEP_3)
	v_lshrrev_b32_e32 v4, 16, v4
	v_subrev_nc_u32_e32 v5, s0, v1
	v_mov_b32_e32 v1, 0
	s_sub_co_i32 s0, s19, s14
	s_branch .LBB22_10
.LBB22_9:                               ;   in Loop: Header=BB22_10 Depth=1
	s_or_b32 exec_lo, exec_lo, s9
	v_add_nc_u32_e32 v5, 0x4b, v5
	s_add_co_i32 s1, s1, 1
	s_delay_alu instid0(SALU_CYCLE_1)
	s_cmp_ge_i32 s1, s0
	s_cbranch_scc1 .LBB22_12
.LBB22_10:                              ; =>This Inner Loop Header: Depth=1
	v_add_nc_u32_e32 v6, s1, v4
	s_mov_b32 s9, exec_lo
	s_delay_alu instid0(VALU_DEP_1)
	v_cmpx_gt_i32_e64 s0, v6
	s_cbranch_execz .LBB22_9
; %bb.11:                               ;   in Loop: Header=BB22_10 Depth=1
	s_wait_kmcnt 0x0
	global_load_b32 v6, v6, s[4:5] scale_offset
	s_wait_loadcnt 0x0
	v_subrev_nc_u32_e32 v6, s14, v6
	s_delay_alu instid0(VALU_DEP_1)
	v_mad_u32 v6, v6, 5, v2
	global_load_b32 v7, v5, s[6:7] scale_offset
	global_load_b32 v8, v6, s[16:17] scale_offset
	s_wait_loadcnt 0x0
	v_fmac_f32_e32 v1, v7, v8
	s_branch .LBB22_9
.LBB22_12:
	v_lshlrev_b32_e32 v2, 2, v0
	s_and_b32 vcc_lo, exec_lo, s3
	ds_store_b32 v2, v1
	s_wait_dscnt 0x0
	s_barrier_signal -1
	s_barrier_wait -1
	s_cbranch_vccz .LBB22_22
; %bb.13:
	v_cmp_eq_u16_e32 vcc_lo, 0, v3
	s_and_saveexec_b32 s0, vcc_lo
	s_cbranch_execz .LBB22_15
; %bb.14:
	ds_load_2addr_b32 v[4:5], v2 offset1:4
	s_wait_dscnt 0x0
	v_add_f32_e32 v4, v5, v4
	ds_store_b32 v2, v4
.LBB22_15:
	s_or_b32 exec_lo, exec_lo, s0
	s_delay_alu instid0(SALU_CYCLE_1)
	s_mov_b32 s1, exec_lo
	s_wait_dscnt 0x0
	s_barrier_signal -1
	s_barrier_wait -1
	v_cmpx_gt_u16_e32 2, v3
	s_cbranch_execz .LBB22_17
; %bb.16:
	ds_load_2addr_b32 v[4:5], v2 offset1:2
	s_wait_dscnt 0x0
	v_add_f32_e32 v3, v5, v4
	ds_store_b32 v2, v3
.LBB22_17:
	s_or_b32 exec_lo, exec_lo, s1
	s_wait_dscnt 0x0
	s_barrier_signal -1
	s_barrier_wait -1
	s_and_saveexec_b32 s0, vcc_lo
	s_cbranch_execz .LBB22_19
; %bb.18:
	ds_load_2addr_b32 v[4:5], v2 offset1:1
	s_wait_dscnt 0x0
	v_add_f32_e32 v3, v5, v4
	ds_store_b32 v2, v3
.LBB22_19:
	s_or_b32 exec_lo, exec_lo, s0
	v_mov_b32_e32 v3, v1
	s_mov_b32 s0, exec_lo
	s_wait_dscnt 0x0
	s_barrier_signal -1
	s_barrier_wait -1
	v_cmpx_gt_u32_e32 15, v0
; %bb.20:
	v_lshl_add_u32 v3, v0, 4, v2
	ds_load_b32 v3, v3
; %bb.21:
	s_or_b32 exec_lo, exec_lo, s0
	v_cmp_gt_u32_e64 s0, 15, v0
	s_branch .LBB22_32
.LBB22_22:
                                        ; implicit-def: $vgpr3
	v_cmp_gt_u32_e64 s0, 15, v0
	s_cbranch_execz .LBB22_32
; %bb.23:
	v_cmp_lt_u32_e32 vcc_lo, 14, v0
	s_and_saveexec_b32 s1, s0
	s_cbranch_execz .LBB22_25
; %bb.24:
	ds_load_2addr_b32 v[4:5], v2 offset1:60
	s_wait_dscnt 0x0
	v_add_f32_e32 v3, v5, v4
	ds_store_b32 v2, v3
.LBB22_25:
	s_or_b32 exec_lo, exec_lo, s1
	s_delay_alu instid0(SALU_CYCLE_1)
	s_mov_b32 s1, exec_lo
	s_wait_dscnt 0x0
	s_barrier_signal -1
	s_barrier_wait -1
	v_cmpx_gt_u32_e32 30, v0
	s_cbranch_execz .LBB22_27
; %bb.26:
	ds_load_2addr_b32 v[4:5], v2 offset1:30
	s_wait_dscnt 0x0
	v_add_f32_e32 v3, v5, v4
	ds_store_b32 v2, v3
.LBB22_27:
	s_or_b32 exec_lo, exec_lo, s1
	s_wait_dscnt 0x0
	s_and_saveexec_b32 s0, vcc_lo
	s_delay_alu instid0(SALU_CYCLE_1)
	s_xor_b32 s0, exec_lo, s0
; %bb.28:
                                        ; implicit-def: $vgpr2
; %bb.29:
	s_delay_alu instid0(SALU_CYCLE_1)
	s_and_not1_saveexec_b32 s0, s0
	s_cbranch_execz .LBB22_31
; %bb.30:
	ds_load_2addr_b32 v[4:5], v2 offset1:15
	s_wait_dscnt 0x0
	v_add_f32_e32 v1, v5, v4
	ds_store_b32 v2, v1
	s_wait_dscnt 0x0
	ds_load_b32 v1, v2
.LBB22_31:
	s_or_b32 exec_lo, exec_lo, s0
	s_wait_dscnt 0x0
	v_mov_b32_e32 v3, v1
.LBB22_32:
	s_mov_b32 s0, exec_lo
	v_cmpx_gt_u32_e32 15, v0
	s_cbranch_execz .LBB22_36
; %bb.33:
	v_mad_u32 v0, s12, 15, v0
	s_wait_dscnt 0x0
	v_mul_f32_e32 v1, s8, v3
	s_cmp_eq_f32 s2, 0
	s_mov_b32 s0, 0
	s_cbranch_scc0 .LBB22_37
; %bb.34:
	global_store_b32 v0, v1, s[10:11] scale_offset
	s_and_not1_b32 vcc_lo, exec_lo, s0
	s_cbranch_vccnz .LBB22_36
.LBB22_35:
	global_load_b32 v2, v0, s[10:11] scale_offset
	s_wait_loadcnt 0x0
	s_wait_xcnt 0x1
	v_fmac_f32_e32 v1, s2, v2
	global_store_b32 v0, v1, s[10:11] scale_offset
.LBB22_36:
	s_endpgm
.LBB22_37:
	s_branch .LBB22_35
	.section	.rodata,"a",@progbits
	.p2align	6, 0x0
	.amdhsa_kernel _ZN9rocsparseL22gebsrmvn_mxn_16_kernelILj75ELj15ELj5EfEEvi20rocsparse_direction_NS_24const_host_device_scalarIT2_EEPKiS6_PKS3_iiS8_S4_PS3_21rocsparse_index_base_b
		.amdhsa_group_segment_fixed_size 300
		.amdhsa_private_segment_fixed_size 0
		.amdhsa_kernarg_size 80
		.amdhsa_user_sgpr_count 2
		.amdhsa_user_sgpr_dispatch_ptr 0
		.amdhsa_user_sgpr_queue_ptr 0
		.amdhsa_user_sgpr_kernarg_segment_ptr 1
		.amdhsa_user_sgpr_dispatch_id 0
		.amdhsa_user_sgpr_kernarg_preload_length 0
		.amdhsa_user_sgpr_kernarg_preload_offset 0
		.amdhsa_user_sgpr_private_segment_size 0
		.amdhsa_wavefront_size32 1
		.amdhsa_uses_dynamic_stack 0
		.amdhsa_enable_private_segment 0
		.amdhsa_system_sgpr_workgroup_id_x 1
		.amdhsa_system_sgpr_workgroup_id_y 0
		.amdhsa_system_sgpr_workgroup_id_z 0
		.amdhsa_system_sgpr_workgroup_info 0
		.amdhsa_system_vgpr_workitem_id 0
		.amdhsa_next_free_vgpr 9
		.amdhsa_next_free_sgpr 20
		.amdhsa_named_barrier_count 0
		.amdhsa_reserve_vcc 1
		.amdhsa_float_round_mode_32 0
		.amdhsa_float_round_mode_16_64 0
		.amdhsa_float_denorm_mode_32 3
		.amdhsa_float_denorm_mode_16_64 3
		.amdhsa_fp16_overflow 0
		.amdhsa_memory_ordered 1
		.amdhsa_forward_progress 1
		.amdhsa_inst_pref_size 9
		.amdhsa_round_robin_scheduling 0
		.amdhsa_exception_fp_ieee_invalid_op 0
		.amdhsa_exception_fp_denorm_src 0
		.amdhsa_exception_fp_ieee_div_zero 0
		.amdhsa_exception_fp_ieee_overflow 0
		.amdhsa_exception_fp_ieee_underflow 0
		.amdhsa_exception_fp_ieee_inexact 0
		.amdhsa_exception_int_div_zero 0
	.end_amdhsa_kernel
	.section	.text._ZN9rocsparseL22gebsrmvn_mxn_16_kernelILj75ELj15ELj5EfEEvi20rocsparse_direction_NS_24const_host_device_scalarIT2_EEPKiS6_PKS3_iiS8_S4_PS3_21rocsparse_index_base_b,"axG",@progbits,_ZN9rocsparseL22gebsrmvn_mxn_16_kernelILj75ELj15ELj5EfEEvi20rocsparse_direction_NS_24const_host_device_scalarIT2_EEPKiS6_PKS3_iiS8_S4_PS3_21rocsparse_index_base_b,comdat
.Lfunc_end22:
	.size	_ZN9rocsparseL22gebsrmvn_mxn_16_kernelILj75ELj15ELj5EfEEvi20rocsparse_direction_NS_24const_host_device_scalarIT2_EEPKiS6_PKS3_iiS8_S4_PS3_21rocsparse_index_base_b, .Lfunc_end22-_ZN9rocsparseL22gebsrmvn_mxn_16_kernelILj75ELj15ELj5EfEEvi20rocsparse_direction_NS_24const_host_device_scalarIT2_EEPKiS6_PKS3_iiS8_S4_PS3_21rocsparse_index_base_b
                                        ; -- End function
	.set _ZN9rocsparseL22gebsrmvn_mxn_16_kernelILj75ELj15ELj5EfEEvi20rocsparse_direction_NS_24const_host_device_scalarIT2_EEPKiS6_PKS3_iiS8_S4_PS3_21rocsparse_index_base_b.num_vgpr, 9
	.set _ZN9rocsparseL22gebsrmvn_mxn_16_kernelILj75ELj15ELj5EfEEvi20rocsparse_direction_NS_24const_host_device_scalarIT2_EEPKiS6_PKS3_iiS8_S4_PS3_21rocsparse_index_base_b.num_agpr, 0
	.set _ZN9rocsparseL22gebsrmvn_mxn_16_kernelILj75ELj15ELj5EfEEvi20rocsparse_direction_NS_24const_host_device_scalarIT2_EEPKiS6_PKS3_iiS8_S4_PS3_21rocsparse_index_base_b.numbered_sgpr, 20
	.set _ZN9rocsparseL22gebsrmvn_mxn_16_kernelILj75ELj15ELj5EfEEvi20rocsparse_direction_NS_24const_host_device_scalarIT2_EEPKiS6_PKS3_iiS8_S4_PS3_21rocsparse_index_base_b.num_named_barrier, 0
	.set _ZN9rocsparseL22gebsrmvn_mxn_16_kernelILj75ELj15ELj5EfEEvi20rocsparse_direction_NS_24const_host_device_scalarIT2_EEPKiS6_PKS3_iiS8_S4_PS3_21rocsparse_index_base_b.private_seg_size, 0
	.set _ZN9rocsparseL22gebsrmvn_mxn_16_kernelILj75ELj15ELj5EfEEvi20rocsparse_direction_NS_24const_host_device_scalarIT2_EEPKiS6_PKS3_iiS8_S4_PS3_21rocsparse_index_base_b.uses_vcc, 1
	.set _ZN9rocsparseL22gebsrmvn_mxn_16_kernelILj75ELj15ELj5EfEEvi20rocsparse_direction_NS_24const_host_device_scalarIT2_EEPKiS6_PKS3_iiS8_S4_PS3_21rocsparse_index_base_b.uses_flat_scratch, 0
	.set _ZN9rocsparseL22gebsrmvn_mxn_16_kernelILj75ELj15ELj5EfEEvi20rocsparse_direction_NS_24const_host_device_scalarIT2_EEPKiS6_PKS3_iiS8_S4_PS3_21rocsparse_index_base_b.has_dyn_sized_stack, 0
	.set _ZN9rocsparseL22gebsrmvn_mxn_16_kernelILj75ELj15ELj5EfEEvi20rocsparse_direction_NS_24const_host_device_scalarIT2_EEPKiS6_PKS3_iiS8_S4_PS3_21rocsparse_index_base_b.has_recursion, 0
	.set _ZN9rocsparseL22gebsrmvn_mxn_16_kernelILj75ELj15ELj5EfEEvi20rocsparse_direction_NS_24const_host_device_scalarIT2_EEPKiS6_PKS3_iiS8_S4_PS3_21rocsparse_index_base_b.has_indirect_call, 0
	.section	.AMDGPU.csdata,"",@progbits
; Kernel info:
; codeLenInByte = 1088
; TotalNumSgprs: 22
; NumVgprs: 9
; ScratchSize: 0
; MemoryBound: 0
; FloatMode: 240
; IeeeMode: 1
; LDSByteSize: 300 bytes/workgroup (compile time only)
; SGPRBlocks: 0
; VGPRBlocks: 0
; NumSGPRsForWavesPerEU: 22
; NumVGPRsForWavesPerEU: 9
; NamedBarCnt: 0
; Occupancy: 16
; WaveLimiterHint : 1
; COMPUTE_PGM_RSRC2:SCRATCH_EN: 0
; COMPUTE_PGM_RSRC2:USER_SGPR: 2
; COMPUTE_PGM_RSRC2:TRAP_HANDLER: 0
; COMPUTE_PGM_RSRC2:TGID_X_EN: 1
; COMPUTE_PGM_RSRC2:TGID_Y_EN: 0
; COMPUTE_PGM_RSRC2:TGID_Z_EN: 0
; COMPUTE_PGM_RSRC2:TIDIG_COMP_CNT: 0
	.section	.text._ZN9rocsparseL22gebsrmvn_mxn_16_kernelILj90ELj15ELj6EfEEvi20rocsparse_direction_NS_24const_host_device_scalarIT2_EEPKiS6_PKS3_iiS8_S4_PS3_21rocsparse_index_base_b,"axG",@progbits,_ZN9rocsparseL22gebsrmvn_mxn_16_kernelILj90ELj15ELj6EfEEvi20rocsparse_direction_NS_24const_host_device_scalarIT2_EEPKiS6_PKS3_iiS8_S4_PS3_21rocsparse_index_base_b,comdat
	.globl	_ZN9rocsparseL22gebsrmvn_mxn_16_kernelILj90ELj15ELj6EfEEvi20rocsparse_direction_NS_24const_host_device_scalarIT2_EEPKiS6_PKS3_iiS8_S4_PS3_21rocsparse_index_base_b ; -- Begin function _ZN9rocsparseL22gebsrmvn_mxn_16_kernelILj90ELj15ELj6EfEEvi20rocsparse_direction_NS_24const_host_device_scalarIT2_EEPKiS6_PKS3_iiS8_S4_PS3_21rocsparse_index_base_b
	.p2align	8
	.type	_ZN9rocsparseL22gebsrmvn_mxn_16_kernelILj90ELj15ELj6EfEEvi20rocsparse_direction_NS_24const_host_device_scalarIT2_EEPKiS6_PKS3_iiS8_S4_PS3_21rocsparse_index_base_b,@function
_ZN9rocsparseL22gebsrmvn_mxn_16_kernelILj90ELj15ELj6EfEEvi20rocsparse_direction_NS_24const_host_device_scalarIT2_EEPKiS6_PKS3_iiS8_S4_PS3_21rocsparse_index_base_b: ; @_ZN9rocsparseL22gebsrmvn_mxn_16_kernelILj90ELj15ELj6EfEEvi20rocsparse_direction_NS_24const_host_device_scalarIT2_EEPKiS6_PKS3_iiS8_S4_PS3_21rocsparse_index_base_b
; %bb.0:
	s_clause 0x2
	s_load_b64 s[14:15], s[0:1], 0x48
	s_load_b64 s[8:9], s[0:1], 0x8
	;; [unrolled: 1-line block ×3, first 2 shown]
	s_wait_kmcnt 0x0
	s_bitcmp1_b32 s15, 0
	s_cselect_b32 s4, -1, 0
	s_delay_alu instid0(SALU_CYCLE_1)
	s_and_b32 vcc_lo, exec_lo, s4
	s_xor_b32 s4, s4, -1
	s_cbranch_vccnz .LBB23_2
; %bb.1:
	s_load_b32 s8, s[8:9], 0x0
.LBB23_2:
	s_and_not1_b32 vcc_lo, exec_lo, s4
	s_cbranch_vccnz .LBB23_4
; %bb.3:
	s_load_b32 s2, s[2:3], 0x0
.LBB23_4:
	s_wait_kmcnt 0x0
	s_cmp_eq_f32 s8, 0
	s_cselect_b32 s3, -1, 0
	s_cmp_eq_f32 s2, 1.0
	s_cselect_b32 s4, -1, 0
	s_delay_alu instid0(SALU_CYCLE_1) | instskip(NEXT) | instid1(SALU_CYCLE_1)
	s_and_b32 s3, s3, s4
	s_and_b32 vcc_lo, exec_lo, s3
	s_cbranch_vccnz .LBB23_36
; %bb.5:
	v_mul_u32_u24_e32 v1, 0x2aab, v0
	s_clause 0x1
	s_load_b32 s3, s[0:1], 0x4
	s_load_b64 s[4:5], s[0:1], 0x10
	v_and_b32_e32 v4, 0xffff, v0
	v_lshrrev_b32_e32 v1, 16, v1
	s_delay_alu instid0(VALU_DEP_1) | instskip(NEXT) | instid1(VALU_DEP_1)
	v_mul_lo_u16 v1, v1, 6
	v_sub_nc_u16 v1, v0, v1
	s_delay_alu instid0(VALU_DEP_1) | instskip(SKIP_3) | instid1(SALU_CYCLE_1)
	v_and_b32_e32 v3, 0xffff, v1
	s_wait_kmcnt 0x0
	s_cmp_lg_u32 s3, 1
	s_cselect_b32 s3, -1, 0
	s_and_b32 vcc_lo, exec_lo, s3
	v_mov_b32_e32 v2, v3
	s_cbranch_vccnz .LBB23_7
; %bb.6:
	v_mul_u32_u24_e32 v1, 0x1112, v4
	s_delay_alu instid0(VALU_DEP_1) | instskip(NEXT) | instid1(VALU_DEP_1)
	v_lshrrev_b32_e32 v1, 16, v1
	v_mul_lo_u16 v2, v1, 43
	s_delay_alu instid0(VALU_DEP_1) | instskip(NEXT) | instid1(VALU_DEP_1)
	v_lshrrev_b16 v2, 8, v2
	v_mul_lo_u16 v2, v2, 6
	s_delay_alu instid0(VALU_DEP_1) | instskip(NEXT) | instid1(VALU_DEP_1)
	v_sub_nc_u16 v1, v1, v2
	v_and_b32_e32 v2, 0xff, v1
.LBB23_7:
	s_bfe_u32 s6, ttmp6, 0x4000c
	s_and_b32 s7, ttmp6, 15
	s_add_co_i32 s6, s6, 1
	s_getreg_b32 s9, hwreg(HW_REG_IB_STS2, 6, 4)
	s_mul_i32 s6, ttmp9, s6
	v_mov_b32_e32 v1, 0
	s_add_co_i32 s7, s7, s6
	s_cmp_eq_u32 s9, 0
	s_cselect_b32 s12, ttmp9, s7
	s_delay_alu instid0(SALU_CYCLE_1) | instskip(NEXT) | instid1(SALU_CYCLE_1)
	s_ashr_i32 s13, s12, 31
	s_lshl_b64 s[6:7], s[12:13], 2
	s_delay_alu instid0(SALU_CYCLE_1)
	s_add_nc_u64 s[4:5], s[4:5], s[6:7]
	s_load_b64 s[18:19], s[4:5], 0x0
	s_load_b64 s[10:11], s[0:1], 0x40
	s_wait_kmcnt 0x0
	s_cmp_ge_i32 s18, s19
	s_cbranch_scc1 .LBB23_12
; %bb.8:
	s_clause 0x1
	s_load_b128 s[4:7], s[0:1], 0x18
	s_load_b64 s[16:17], s[0:1], 0x30
	v_mad_u32 v1, 0x5a, s18, v0
	v_mul_u32_u24_e32 v4, 0x2d9, v4
	s_wait_xcnt 0x0
	s_mul_i32 s0, s14, 0x5a
	s_sub_co_i32 s1, s18, s14
	s_delay_alu instid0(VALU_DEP_1) | instskip(NEXT) | instid1(VALU_DEP_3)
	v_lshrrev_b32_e32 v4, 16, v4
	v_subrev_nc_u32_e32 v5, s0, v1
	v_mov_b32_e32 v1, 0
	s_sub_co_i32 s0, s19, s14
	s_branch .LBB23_10
.LBB23_9:                               ;   in Loop: Header=BB23_10 Depth=1
	s_or_b32 exec_lo, exec_lo, s9
	v_add_nc_u32_e32 v5, 0x5a, v5
	s_add_co_i32 s1, s1, 1
	s_delay_alu instid0(SALU_CYCLE_1)
	s_cmp_ge_i32 s1, s0
	s_cbranch_scc1 .LBB23_12
.LBB23_10:                              ; =>This Inner Loop Header: Depth=1
	v_add_nc_u32_e32 v6, s1, v4
	s_mov_b32 s9, exec_lo
	s_delay_alu instid0(VALU_DEP_1)
	v_cmpx_gt_i32_e64 s0, v6
	s_cbranch_execz .LBB23_9
; %bb.11:                               ;   in Loop: Header=BB23_10 Depth=1
	s_wait_kmcnt 0x0
	global_load_b32 v6, v6, s[4:5] scale_offset
	s_wait_loadcnt 0x0
	v_subrev_nc_u32_e32 v6, s14, v6
	s_delay_alu instid0(VALU_DEP_1)
	v_mad_u32 v6, v6, 6, v2
	global_load_b32 v7, v5, s[6:7] scale_offset
	global_load_b32 v8, v6, s[16:17] scale_offset
	s_wait_loadcnt 0x0
	v_fmac_f32_e32 v1, v7, v8
	s_branch .LBB23_9
.LBB23_12:
	v_lshlrev_b32_e32 v2, 2, v0
	s_and_b32 vcc_lo, exec_lo, s3
	ds_store_b32 v2, v1
	s_wait_dscnt 0x0
	s_barrier_signal -1
	s_barrier_wait -1
	s_cbranch_vccz .LBB23_22
; %bb.13:
	v_cmp_gt_u16_e32 vcc_lo, 2, v3
	s_and_saveexec_b32 s0, vcc_lo
	s_cbranch_execz .LBB23_15
; %bb.14:
	ds_load_2addr_b32 v[4:5], v2 offset1:4
	s_wait_dscnt 0x0
	v_add_f32_e32 v4, v5, v4
	ds_store_b32 v2, v4
.LBB23_15:
	s_or_b32 exec_lo, exec_lo, s0
	s_wait_dscnt 0x0
	s_barrier_signal -1
	s_barrier_wait -1
	s_and_saveexec_b32 s0, vcc_lo
	s_cbranch_execz .LBB23_17
; %bb.16:
	ds_load_2addr_b32 v[4:5], v2 offset1:2
	s_wait_dscnt 0x0
	v_add_f32_e32 v4, v5, v4
	ds_store_b32 v2, v4
.LBB23_17:
	s_or_b32 exec_lo, exec_lo, s0
	s_delay_alu instid0(SALU_CYCLE_1)
	s_mov_b32 s0, exec_lo
	s_wait_dscnt 0x0
	s_barrier_signal -1
	s_barrier_wait -1
	v_cmpx_eq_u16_e32 0, v3
	s_cbranch_execz .LBB23_19
; %bb.18:
	ds_load_2addr_b32 v[4:5], v2 offset1:1
	s_wait_dscnt 0x0
	v_add_f32_e32 v3, v5, v4
	ds_store_b32 v2, v3
.LBB23_19:
	s_or_b32 exec_lo, exec_lo, s0
	v_mov_b32_e32 v3, v1
	s_mov_b32 s0, exec_lo
	s_wait_dscnt 0x0
	s_barrier_signal -1
	s_barrier_wait -1
	v_cmpx_gt_u32_e32 15, v0
; %bb.20:
	v_mad_u32_u24 v3, v0, 20, v2
	ds_load_b32 v3, v3
; %bb.21:
	s_or_b32 exec_lo, exec_lo, s0
	s_branch .LBB23_32
.LBB23_22:
                                        ; implicit-def: $vgpr3
	s_cbranch_execz .LBB23_32
; %bb.23:
	v_cmp_gt_u32_e32 vcc_lo, 30, v0
	s_and_saveexec_b32 s0, vcc_lo
	s_cbranch_execz .LBB23_25
; %bb.24:
	ds_load_2addr_b32 v[4:5], v2 offset1:60
	s_wait_dscnt 0x0
	v_add_f32_e32 v3, v5, v4
	ds_store_b32 v2, v3
.LBB23_25:
	s_or_b32 exec_lo, exec_lo, s0
	s_wait_dscnt 0x0
	s_barrier_signal -1
	s_barrier_wait -1
	s_and_saveexec_b32 s0, vcc_lo
	s_cbranch_execz .LBB23_27
; %bb.26:
	ds_load_2addr_b32 v[4:5], v2 offset1:30
	s_wait_dscnt 0x0
	v_add_f32_e32 v3, v5, v4
	ds_store_b32 v2, v3
.LBB23_27:
	s_or_b32 exec_lo, exec_lo, s0
	s_delay_alu instid0(SALU_CYCLE_1)
	s_mov_b32 s0, exec_lo
	s_wait_dscnt 0x0
	v_cmpx_lt_u32_e32 14, v0
	s_xor_b32 s0, exec_lo, s0
; %bb.28:
                                        ; implicit-def: $vgpr2
; %bb.29:
	s_delay_alu instid0(SALU_CYCLE_1)
	s_and_not1_saveexec_b32 s0, s0
	s_cbranch_execz .LBB23_31
; %bb.30:
	ds_load_2addr_b32 v[4:5], v2 offset1:15
	s_wait_dscnt 0x0
	v_add_f32_e32 v1, v5, v4
	ds_store_b32 v2, v1
	s_wait_dscnt 0x0
	ds_load_b32 v1, v2
.LBB23_31:
	s_or_b32 exec_lo, exec_lo, s0
	s_wait_dscnt 0x0
	v_mov_b32_e32 v3, v1
.LBB23_32:
	s_mov_b32 s0, exec_lo
	v_cmpx_gt_u32_e32 15, v0
	s_cbranch_execz .LBB23_36
; %bb.33:
	v_mad_u32 v0, s12, 15, v0
	s_wait_dscnt 0x0
	v_mul_f32_e32 v1, s8, v3
	s_cmp_eq_f32 s2, 0
	s_mov_b32 s0, 0
	s_cbranch_scc0 .LBB23_37
; %bb.34:
	global_store_b32 v0, v1, s[10:11] scale_offset
	s_and_not1_b32 vcc_lo, exec_lo, s0
	s_cbranch_vccnz .LBB23_36
.LBB23_35:
	global_load_b32 v2, v0, s[10:11] scale_offset
	s_wait_loadcnt 0x0
	s_wait_xcnt 0x1
	v_fmac_f32_e32 v1, s2, v2
	global_store_b32 v0, v1, s[10:11] scale_offset
.LBB23_36:
	s_endpgm
.LBB23_37:
	s_branch .LBB23_35
	.section	.rodata,"a",@progbits
	.p2align	6, 0x0
	.amdhsa_kernel _ZN9rocsparseL22gebsrmvn_mxn_16_kernelILj90ELj15ELj6EfEEvi20rocsparse_direction_NS_24const_host_device_scalarIT2_EEPKiS6_PKS3_iiS8_S4_PS3_21rocsparse_index_base_b
		.amdhsa_group_segment_fixed_size 360
		.amdhsa_private_segment_fixed_size 0
		.amdhsa_kernarg_size 80
		.amdhsa_user_sgpr_count 2
		.amdhsa_user_sgpr_dispatch_ptr 0
		.amdhsa_user_sgpr_queue_ptr 0
		.amdhsa_user_sgpr_kernarg_segment_ptr 1
		.amdhsa_user_sgpr_dispatch_id 0
		.amdhsa_user_sgpr_kernarg_preload_length 0
		.amdhsa_user_sgpr_kernarg_preload_offset 0
		.amdhsa_user_sgpr_private_segment_size 0
		.amdhsa_wavefront_size32 1
		.amdhsa_uses_dynamic_stack 0
		.amdhsa_enable_private_segment 0
		.amdhsa_system_sgpr_workgroup_id_x 1
		.amdhsa_system_sgpr_workgroup_id_y 0
		.amdhsa_system_sgpr_workgroup_id_z 0
		.amdhsa_system_sgpr_workgroup_info 0
		.amdhsa_system_vgpr_workitem_id 0
		.amdhsa_next_free_vgpr 9
		.amdhsa_next_free_sgpr 20
		.amdhsa_named_barrier_count 0
		.amdhsa_reserve_vcc 1
		.amdhsa_float_round_mode_32 0
		.amdhsa_float_round_mode_16_64 0
		.amdhsa_float_denorm_mode_32 3
		.amdhsa_float_denorm_mode_16_64 3
		.amdhsa_fp16_overflow 0
		.amdhsa_memory_ordered 1
		.amdhsa_forward_progress 1
		.amdhsa_inst_pref_size 9
		.amdhsa_round_robin_scheduling 0
		.amdhsa_exception_fp_ieee_invalid_op 0
		.amdhsa_exception_fp_denorm_src 0
		.amdhsa_exception_fp_ieee_div_zero 0
		.amdhsa_exception_fp_ieee_overflow 0
		.amdhsa_exception_fp_ieee_underflow 0
		.amdhsa_exception_fp_ieee_inexact 0
		.amdhsa_exception_int_div_zero 0
	.end_amdhsa_kernel
	.section	.text._ZN9rocsparseL22gebsrmvn_mxn_16_kernelILj90ELj15ELj6EfEEvi20rocsparse_direction_NS_24const_host_device_scalarIT2_EEPKiS6_PKS3_iiS8_S4_PS3_21rocsparse_index_base_b,"axG",@progbits,_ZN9rocsparseL22gebsrmvn_mxn_16_kernelILj90ELj15ELj6EfEEvi20rocsparse_direction_NS_24const_host_device_scalarIT2_EEPKiS6_PKS3_iiS8_S4_PS3_21rocsparse_index_base_b,comdat
.Lfunc_end23:
	.size	_ZN9rocsparseL22gebsrmvn_mxn_16_kernelILj90ELj15ELj6EfEEvi20rocsparse_direction_NS_24const_host_device_scalarIT2_EEPKiS6_PKS3_iiS8_S4_PS3_21rocsparse_index_base_b, .Lfunc_end23-_ZN9rocsparseL22gebsrmvn_mxn_16_kernelILj90ELj15ELj6EfEEvi20rocsparse_direction_NS_24const_host_device_scalarIT2_EEPKiS6_PKS3_iiS8_S4_PS3_21rocsparse_index_base_b
                                        ; -- End function
	.set _ZN9rocsparseL22gebsrmvn_mxn_16_kernelILj90ELj15ELj6EfEEvi20rocsparse_direction_NS_24const_host_device_scalarIT2_EEPKiS6_PKS3_iiS8_S4_PS3_21rocsparse_index_base_b.num_vgpr, 9
	.set _ZN9rocsparseL22gebsrmvn_mxn_16_kernelILj90ELj15ELj6EfEEvi20rocsparse_direction_NS_24const_host_device_scalarIT2_EEPKiS6_PKS3_iiS8_S4_PS3_21rocsparse_index_base_b.num_agpr, 0
	.set _ZN9rocsparseL22gebsrmvn_mxn_16_kernelILj90ELj15ELj6EfEEvi20rocsparse_direction_NS_24const_host_device_scalarIT2_EEPKiS6_PKS3_iiS8_S4_PS3_21rocsparse_index_base_b.numbered_sgpr, 20
	.set _ZN9rocsparseL22gebsrmvn_mxn_16_kernelILj90ELj15ELj6EfEEvi20rocsparse_direction_NS_24const_host_device_scalarIT2_EEPKiS6_PKS3_iiS8_S4_PS3_21rocsparse_index_base_b.num_named_barrier, 0
	.set _ZN9rocsparseL22gebsrmvn_mxn_16_kernelILj90ELj15ELj6EfEEvi20rocsparse_direction_NS_24const_host_device_scalarIT2_EEPKiS6_PKS3_iiS8_S4_PS3_21rocsparse_index_base_b.private_seg_size, 0
	.set _ZN9rocsparseL22gebsrmvn_mxn_16_kernelILj90ELj15ELj6EfEEvi20rocsparse_direction_NS_24const_host_device_scalarIT2_EEPKiS6_PKS3_iiS8_S4_PS3_21rocsparse_index_base_b.uses_vcc, 1
	.set _ZN9rocsparseL22gebsrmvn_mxn_16_kernelILj90ELj15ELj6EfEEvi20rocsparse_direction_NS_24const_host_device_scalarIT2_EEPKiS6_PKS3_iiS8_S4_PS3_21rocsparse_index_base_b.uses_flat_scratch, 0
	.set _ZN9rocsparseL22gebsrmvn_mxn_16_kernelILj90ELj15ELj6EfEEvi20rocsparse_direction_NS_24const_host_device_scalarIT2_EEPKiS6_PKS3_iiS8_S4_PS3_21rocsparse_index_base_b.has_dyn_sized_stack, 0
	.set _ZN9rocsparseL22gebsrmvn_mxn_16_kernelILj90ELj15ELj6EfEEvi20rocsparse_direction_NS_24const_host_device_scalarIT2_EEPKiS6_PKS3_iiS8_S4_PS3_21rocsparse_index_base_b.has_recursion, 0
	.set _ZN9rocsparseL22gebsrmvn_mxn_16_kernelILj90ELj15ELj6EfEEvi20rocsparse_direction_NS_24const_host_device_scalarIT2_EEPKiS6_PKS3_iiS8_S4_PS3_21rocsparse_index_base_b.has_indirect_call, 0
	.section	.AMDGPU.csdata,"",@progbits
; Kernel info:
; codeLenInByte = 1068
; TotalNumSgprs: 22
; NumVgprs: 9
; ScratchSize: 0
; MemoryBound: 0
; FloatMode: 240
; IeeeMode: 1
; LDSByteSize: 360 bytes/workgroup (compile time only)
; SGPRBlocks: 0
; VGPRBlocks: 0
; NumSGPRsForWavesPerEU: 22
; NumVGPRsForWavesPerEU: 9
; NamedBarCnt: 0
; Occupancy: 16
; WaveLimiterHint : 1
; COMPUTE_PGM_RSRC2:SCRATCH_EN: 0
; COMPUTE_PGM_RSRC2:USER_SGPR: 2
; COMPUTE_PGM_RSRC2:TRAP_HANDLER: 0
; COMPUTE_PGM_RSRC2:TGID_X_EN: 1
; COMPUTE_PGM_RSRC2:TGID_Y_EN: 0
; COMPUTE_PGM_RSRC2:TGID_Z_EN: 0
; COMPUTE_PGM_RSRC2:TIDIG_COMP_CNT: 0
	.section	.text._ZN9rocsparseL22gebsrmvn_mxn_16_kernelILj105ELj15ELj7EfEEvi20rocsparse_direction_NS_24const_host_device_scalarIT2_EEPKiS6_PKS3_iiS8_S4_PS3_21rocsparse_index_base_b,"axG",@progbits,_ZN9rocsparseL22gebsrmvn_mxn_16_kernelILj105ELj15ELj7EfEEvi20rocsparse_direction_NS_24const_host_device_scalarIT2_EEPKiS6_PKS3_iiS8_S4_PS3_21rocsparse_index_base_b,comdat
	.globl	_ZN9rocsparseL22gebsrmvn_mxn_16_kernelILj105ELj15ELj7EfEEvi20rocsparse_direction_NS_24const_host_device_scalarIT2_EEPKiS6_PKS3_iiS8_S4_PS3_21rocsparse_index_base_b ; -- Begin function _ZN9rocsparseL22gebsrmvn_mxn_16_kernelILj105ELj15ELj7EfEEvi20rocsparse_direction_NS_24const_host_device_scalarIT2_EEPKiS6_PKS3_iiS8_S4_PS3_21rocsparse_index_base_b
	.p2align	8
	.type	_ZN9rocsparseL22gebsrmvn_mxn_16_kernelILj105ELj15ELj7EfEEvi20rocsparse_direction_NS_24const_host_device_scalarIT2_EEPKiS6_PKS3_iiS8_S4_PS3_21rocsparse_index_base_b,@function
_ZN9rocsparseL22gebsrmvn_mxn_16_kernelILj105ELj15ELj7EfEEvi20rocsparse_direction_NS_24const_host_device_scalarIT2_EEPKiS6_PKS3_iiS8_S4_PS3_21rocsparse_index_base_b: ; @_ZN9rocsparseL22gebsrmvn_mxn_16_kernelILj105ELj15ELj7EfEEvi20rocsparse_direction_NS_24const_host_device_scalarIT2_EEPKiS6_PKS3_iiS8_S4_PS3_21rocsparse_index_base_b
; %bb.0:
	s_clause 0x2
	s_load_b64 s[14:15], s[0:1], 0x48
	s_load_b64 s[8:9], s[0:1], 0x8
	;; [unrolled: 1-line block ×3, first 2 shown]
	s_wait_kmcnt 0x0
	s_bitcmp1_b32 s15, 0
	s_cselect_b32 s4, -1, 0
	s_delay_alu instid0(SALU_CYCLE_1)
	s_and_b32 vcc_lo, exec_lo, s4
	s_xor_b32 s4, s4, -1
	s_cbranch_vccnz .LBB24_2
; %bb.1:
	s_load_b32 s8, s[8:9], 0x0
.LBB24_2:
	s_and_not1_b32 vcc_lo, exec_lo, s4
	s_cbranch_vccnz .LBB24_4
; %bb.3:
	s_load_b32 s2, s[2:3], 0x0
.LBB24_4:
	s_wait_kmcnt 0x0
	s_cmp_eq_f32 s8, 0
	s_cselect_b32 s3, -1, 0
	s_cmp_eq_f32 s2, 1.0
	s_cselect_b32 s4, -1, 0
	s_delay_alu instid0(SALU_CYCLE_1) | instskip(NEXT) | instid1(SALU_CYCLE_1)
	s_and_b32 s3, s3, s4
	s_and_b32 vcc_lo, exec_lo, s3
	s_cbranch_vccnz .LBB24_36
; %bb.5:
	v_mul_u32_u24_e32 v1, 0x2493, v0
	s_clause 0x1
	s_load_b32 s3, s[0:1], 0x4
	s_load_b64 s[4:5], s[0:1], 0x10
	v_and_b32_e32 v4, 0xffff, v0
	v_lshrrev_b32_e32 v1, 16, v1
	s_delay_alu instid0(VALU_DEP_1) | instskip(NEXT) | instid1(VALU_DEP_1)
	v_mul_lo_u16 v1, v1, 7
	v_sub_nc_u16 v1, v0, v1
	s_delay_alu instid0(VALU_DEP_1) | instskip(SKIP_3) | instid1(SALU_CYCLE_1)
	v_and_b32_e32 v3, 0xffff, v1
	s_wait_kmcnt 0x0
	s_cmp_lg_u32 s3, 1
	s_cselect_b32 s3, -1, 0
	s_and_b32 vcc_lo, exec_lo, s3
	v_mov_b32_e32 v2, v3
	s_cbranch_vccnz .LBB24_7
; %bb.6:
	v_mul_u32_u24_e32 v1, 0x1112, v4
	s_delay_alu instid0(VALU_DEP_1) | instskip(NEXT) | instid1(VALU_DEP_1)
	v_lshrrev_b32_e32 v1, 16, v1
	v_mul_lo_u16 v2, v1, 37
	s_delay_alu instid0(VALU_DEP_1) | instskip(NEXT) | instid1(VALU_DEP_1)
	v_lshrrev_b16 v2, 8, v2
	v_mul_lo_u16 v2, v2, 7
	s_delay_alu instid0(VALU_DEP_1) | instskip(NEXT) | instid1(VALU_DEP_1)
	v_sub_nc_u16 v1, v1, v2
	v_and_b32_e32 v2, 0xff, v1
.LBB24_7:
	s_bfe_u32 s6, ttmp6, 0x4000c
	s_and_b32 s7, ttmp6, 15
	s_add_co_i32 s6, s6, 1
	s_getreg_b32 s9, hwreg(HW_REG_IB_STS2, 6, 4)
	s_mul_i32 s6, ttmp9, s6
	v_mov_b32_e32 v1, 0
	s_add_co_i32 s7, s7, s6
	s_cmp_eq_u32 s9, 0
	s_cselect_b32 s12, ttmp9, s7
	s_delay_alu instid0(SALU_CYCLE_1) | instskip(NEXT) | instid1(SALU_CYCLE_1)
	s_ashr_i32 s13, s12, 31
	s_lshl_b64 s[6:7], s[12:13], 2
	s_delay_alu instid0(SALU_CYCLE_1)
	s_add_nc_u64 s[4:5], s[4:5], s[6:7]
	s_load_b64 s[18:19], s[4:5], 0x0
	s_load_b64 s[10:11], s[0:1], 0x40
	s_wait_kmcnt 0x0
	s_cmp_ge_i32 s18, s19
	s_cbranch_scc1 .LBB24_12
; %bb.8:
	s_clause 0x1
	s_load_b128 s[4:7], s[0:1], 0x18
	s_load_b64 s[16:17], s[0:1], 0x30
	v_mad_u32 v1, 0x69, s18, v0
	v_mul_u32_u24_e32 v4, 0x271, v4
	s_wait_xcnt 0x0
	s_mul_i32 s0, s14, 0x69
	s_sub_co_i32 s1, s18, s14
	s_delay_alu instid0(VALU_DEP_1) | instskip(NEXT) | instid1(VALU_DEP_3)
	v_lshrrev_b32_e32 v4, 16, v4
	v_subrev_nc_u32_e32 v5, s0, v1
	v_mov_b32_e32 v1, 0
	s_sub_co_i32 s0, s19, s14
	s_branch .LBB24_10
.LBB24_9:                               ;   in Loop: Header=BB24_10 Depth=1
	s_or_b32 exec_lo, exec_lo, s9
	v_add_nc_u32_e32 v5, 0x69, v5
	s_add_co_i32 s1, s1, 1
	s_delay_alu instid0(SALU_CYCLE_1)
	s_cmp_ge_i32 s1, s0
	s_cbranch_scc1 .LBB24_12
.LBB24_10:                              ; =>This Inner Loop Header: Depth=1
	v_add_nc_u32_e32 v6, s1, v4
	s_mov_b32 s9, exec_lo
	s_delay_alu instid0(VALU_DEP_1)
	v_cmpx_gt_i32_e64 s0, v6
	s_cbranch_execz .LBB24_9
; %bb.11:                               ;   in Loop: Header=BB24_10 Depth=1
	s_wait_kmcnt 0x0
	global_load_b32 v6, v6, s[4:5] scale_offset
	s_wait_loadcnt 0x0
	v_subrev_nc_u32_e32 v6, s14, v6
	s_delay_alu instid0(VALU_DEP_1)
	v_mad_u32 v6, v6, 7, v2
	global_load_b32 v7, v5, s[6:7] scale_offset
	global_load_b32 v8, v6, s[16:17] scale_offset
	s_wait_loadcnt 0x0
	v_fmac_f32_e32 v1, v7, v8
	s_branch .LBB24_9
.LBB24_12:
	v_lshlrev_b32_e32 v2, 2, v0
	s_and_b32 vcc_lo, exec_lo, s3
	ds_store_b32 v2, v1
	s_wait_dscnt 0x0
	s_barrier_signal -1
	s_barrier_wait -1
	s_cbranch_vccz .LBB24_22
; %bb.13:
	s_mov_b32 s0, exec_lo
	v_cmpx_gt_u16_e32 3, v3
	s_cbranch_execz .LBB24_15
; %bb.14:
	ds_load_2addr_b32 v[4:5], v2 offset1:4
	s_wait_dscnt 0x0
	v_add_f32_e32 v4, v5, v4
	ds_store_b32 v2, v4
.LBB24_15:
	s_or_b32 exec_lo, exec_lo, s0
	s_delay_alu instid0(SALU_CYCLE_1)
	s_mov_b32 s0, exec_lo
	s_wait_dscnt 0x0
	s_barrier_signal -1
	s_barrier_wait -1
	v_cmpx_gt_u16_e32 2, v3
	s_cbranch_execz .LBB24_17
; %bb.16:
	ds_load_2addr_b32 v[4:5], v2 offset1:2
	s_wait_dscnt 0x0
	v_add_f32_e32 v4, v5, v4
	ds_store_b32 v2, v4
.LBB24_17:
	s_or_b32 exec_lo, exec_lo, s0
	s_delay_alu instid0(SALU_CYCLE_1)
	s_mov_b32 s0, exec_lo
	s_wait_dscnt 0x0
	s_barrier_signal -1
	s_barrier_wait -1
	v_cmpx_eq_u16_e32 0, v3
	s_cbranch_execz .LBB24_19
; %bb.18:
	ds_load_2addr_b32 v[4:5], v2 offset1:1
	s_wait_dscnt 0x0
	v_add_f32_e32 v3, v5, v4
	ds_store_b32 v2, v3
.LBB24_19:
	s_or_b32 exec_lo, exec_lo, s0
	v_mov_b32_e32 v3, v1
	s_mov_b32 s0, exec_lo
	s_wait_dscnt 0x0
	s_barrier_signal -1
	s_barrier_wait -1
	v_cmpx_gt_u32_e32 15, v0
; %bb.20:
	v_mad_u32_u24 v3, v0, 24, v2
	ds_load_b32 v3, v3
; %bb.21:
	s_or_b32 exec_lo, exec_lo, s0
	s_branch .LBB24_32
.LBB24_22:
                                        ; implicit-def: $vgpr3
	s_cbranch_execz .LBB24_32
; %bb.23:
	s_mov_b32 s0, exec_lo
	v_cmpx_gt_u32_e32 45, v0
	s_cbranch_execz .LBB24_25
; %bb.24:
	ds_load_2addr_b32 v[4:5], v2 offset1:60
	s_wait_dscnt 0x0
	v_add_f32_e32 v3, v5, v4
	ds_store_b32 v2, v3
.LBB24_25:
	s_or_b32 exec_lo, exec_lo, s0
	s_delay_alu instid0(SALU_CYCLE_1)
	s_mov_b32 s0, exec_lo
	s_wait_dscnt 0x0
	s_barrier_signal -1
	s_barrier_wait -1
	v_cmpx_gt_u32_e32 30, v0
	s_cbranch_execz .LBB24_27
; %bb.26:
	ds_load_2addr_b32 v[4:5], v2 offset1:30
	s_wait_dscnt 0x0
	v_add_f32_e32 v3, v5, v4
	ds_store_b32 v2, v3
.LBB24_27:
	s_or_b32 exec_lo, exec_lo, s0
	s_delay_alu instid0(SALU_CYCLE_1)
	s_mov_b32 s0, exec_lo
	s_wait_dscnt 0x0
	v_cmpx_lt_u32_e32 14, v0
	s_xor_b32 s0, exec_lo, s0
; %bb.28:
                                        ; implicit-def: $vgpr2
; %bb.29:
	s_delay_alu instid0(SALU_CYCLE_1)
	s_and_not1_saveexec_b32 s0, s0
	s_cbranch_execz .LBB24_31
; %bb.30:
	ds_load_2addr_b32 v[4:5], v2 offset1:15
	s_wait_dscnt 0x0
	v_add_f32_e32 v1, v5, v4
	ds_store_b32 v2, v1
	s_wait_dscnt 0x0
	ds_load_b32 v1, v2
.LBB24_31:
	s_or_b32 exec_lo, exec_lo, s0
	s_wait_dscnt 0x0
	v_mov_b32_e32 v3, v1
.LBB24_32:
	s_mov_b32 s0, exec_lo
	v_cmpx_gt_u32_e32 15, v0
	s_cbranch_execz .LBB24_36
; %bb.33:
	v_mad_u32 v0, s12, 15, v0
	s_wait_dscnt 0x0
	v_mul_f32_e32 v1, s8, v3
	s_cmp_eq_f32 s2, 0
	s_mov_b32 s0, 0
	s_cbranch_scc0 .LBB24_37
; %bb.34:
	global_store_b32 v0, v1, s[10:11] scale_offset
	s_and_not1_b32 vcc_lo, exec_lo, s0
	s_cbranch_vccnz .LBB24_36
.LBB24_35:
	global_load_b32 v2, v0, s[10:11] scale_offset
	s_wait_loadcnt 0x0
	s_wait_xcnt 0x1
	v_fmac_f32_e32 v1, s2, v2
	global_store_b32 v0, v1, s[10:11] scale_offset
.LBB24_36:
	s_endpgm
.LBB24_37:
	s_branch .LBB24_35
	.section	.rodata,"a",@progbits
	.p2align	6, 0x0
	.amdhsa_kernel _ZN9rocsparseL22gebsrmvn_mxn_16_kernelILj105ELj15ELj7EfEEvi20rocsparse_direction_NS_24const_host_device_scalarIT2_EEPKiS6_PKS3_iiS8_S4_PS3_21rocsparse_index_base_b
		.amdhsa_group_segment_fixed_size 420
		.amdhsa_private_segment_fixed_size 0
		.amdhsa_kernarg_size 80
		.amdhsa_user_sgpr_count 2
		.amdhsa_user_sgpr_dispatch_ptr 0
		.amdhsa_user_sgpr_queue_ptr 0
		.amdhsa_user_sgpr_kernarg_segment_ptr 1
		.amdhsa_user_sgpr_dispatch_id 0
		.amdhsa_user_sgpr_kernarg_preload_length 0
		.amdhsa_user_sgpr_kernarg_preload_offset 0
		.amdhsa_user_sgpr_private_segment_size 0
		.amdhsa_wavefront_size32 1
		.amdhsa_uses_dynamic_stack 0
		.amdhsa_enable_private_segment 0
		.amdhsa_system_sgpr_workgroup_id_x 1
		.amdhsa_system_sgpr_workgroup_id_y 0
		.amdhsa_system_sgpr_workgroup_id_z 0
		.amdhsa_system_sgpr_workgroup_info 0
		.amdhsa_system_vgpr_workitem_id 0
		.amdhsa_next_free_vgpr 9
		.amdhsa_next_free_sgpr 20
		.amdhsa_named_barrier_count 0
		.amdhsa_reserve_vcc 1
		.amdhsa_float_round_mode_32 0
		.amdhsa_float_round_mode_16_64 0
		.amdhsa_float_denorm_mode_32 3
		.amdhsa_float_denorm_mode_16_64 3
		.amdhsa_fp16_overflow 0
		.amdhsa_memory_ordered 1
		.amdhsa_forward_progress 1
		.amdhsa_inst_pref_size 9
		.amdhsa_round_robin_scheduling 0
		.amdhsa_exception_fp_ieee_invalid_op 0
		.amdhsa_exception_fp_denorm_src 0
		.amdhsa_exception_fp_ieee_div_zero 0
		.amdhsa_exception_fp_ieee_overflow 0
		.amdhsa_exception_fp_ieee_underflow 0
		.amdhsa_exception_fp_ieee_inexact 0
		.amdhsa_exception_int_div_zero 0
	.end_amdhsa_kernel
	.section	.text._ZN9rocsparseL22gebsrmvn_mxn_16_kernelILj105ELj15ELj7EfEEvi20rocsparse_direction_NS_24const_host_device_scalarIT2_EEPKiS6_PKS3_iiS8_S4_PS3_21rocsparse_index_base_b,"axG",@progbits,_ZN9rocsparseL22gebsrmvn_mxn_16_kernelILj105ELj15ELj7EfEEvi20rocsparse_direction_NS_24const_host_device_scalarIT2_EEPKiS6_PKS3_iiS8_S4_PS3_21rocsparse_index_base_b,comdat
.Lfunc_end24:
	.size	_ZN9rocsparseL22gebsrmvn_mxn_16_kernelILj105ELj15ELj7EfEEvi20rocsparse_direction_NS_24const_host_device_scalarIT2_EEPKiS6_PKS3_iiS8_S4_PS3_21rocsparse_index_base_b, .Lfunc_end24-_ZN9rocsparseL22gebsrmvn_mxn_16_kernelILj105ELj15ELj7EfEEvi20rocsparse_direction_NS_24const_host_device_scalarIT2_EEPKiS6_PKS3_iiS8_S4_PS3_21rocsparse_index_base_b
                                        ; -- End function
	.set _ZN9rocsparseL22gebsrmvn_mxn_16_kernelILj105ELj15ELj7EfEEvi20rocsparse_direction_NS_24const_host_device_scalarIT2_EEPKiS6_PKS3_iiS8_S4_PS3_21rocsparse_index_base_b.num_vgpr, 9
	.set _ZN9rocsparseL22gebsrmvn_mxn_16_kernelILj105ELj15ELj7EfEEvi20rocsparse_direction_NS_24const_host_device_scalarIT2_EEPKiS6_PKS3_iiS8_S4_PS3_21rocsparse_index_base_b.num_agpr, 0
	.set _ZN9rocsparseL22gebsrmvn_mxn_16_kernelILj105ELj15ELj7EfEEvi20rocsparse_direction_NS_24const_host_device_scalarIT2_EEPKiS6_PKS3_iiS8_S4_PS3_21rocsparse_index_base_b.numbered_sgpr, 20
	.set _ZN9rocsparseL22gebsrmvn_mxn_16_kernelILj105ELj15ELj7EfEEvi20rocsparse_direction_NS_24const_host_device_scalarIT2_EEPKiS6_PKS3_iiS8_S4_PS3_21rocsparse_index_base_b.num_named_barrier, 0
	.set _ZN9rocsparseL22gebsrmvn_mxn_16_kernelILj105ELj15ELj7EfEEvi20rocsparse_direction_NS_24const_host_device_scalarIT2_EEPKiS6_PKS3_iiS8_S4_PS3_21rocsparse_index_base_b.private_seg_size, 0
	.set _ZN9rocsparseL22gebsrmvn_mxn_16_kernelILj105ELj15ELj7EfEEvi20rocsparse_direction_NS_24const_host_device_scalarIT2_EEPKiS6_PKS3_iiS8_S4_PS3_21rocsparse_index_base_b.uses_vcc, 1
	.set _ZN9rocsparseL22gebsrmvn_mxn_16_kernelILj105ELj15ELj7EfEEvi20rocsparse_direction_NS_24const_host_device_scalarIT2_EEPKiS6_PKS3_iiS8_S4_PS3_21rocsparse_index_base_b.uses_flat_scratch, 0
	.set _ZN9rocsparseL22gebsrmvn_mxn_16_kernelILj105ELj15ELj7EfEEvi20rocsparse_direction_NS_24const_host_device_scalarIT2_EEPKiS6_PKS3_iiS8_S4_PS3_21rocsparse_index_base_b.has_dyn_sized_stack, 0
	.set _ZN9rocsparseL22gebsrmvn_mxn_16_kernelILj105ELj15ELj7EfEEvi20rocsparse_direction_NS_24const_host_device_scalarIT2_EEPKiS6_PKS3_iiS8_S4_PS3_21rocsparse_index_base_b.has_recursion, 0
	.set _ZN9rocsparseL22gebsrmvn_mxn_16_kernelILj105ELj15ELj7EfEEvi20rocsparse_direction_NS_24const_host_device_scalarIT2_EEPKiS6_PKS3_iiS8_S4_PS3_21rocsparse_index_base_b.has_indirect_call, 0
	.section	.AMDGPU.csdata,"",@progbits
; Kernel info:
; codeLenInByte = 1084
; TotalNumSgprs: 22
; NumVgprs: 9
; ScratchSize: 0
; MemoryBound: 0
; FloatMode: 240
; IeeeMode: 1
; LDSByteSize: 420 bytes/workgroup (compile time only)
; SGPRBlocks: 0
; VGPRBlocks: 0
; NumSGPRsForWavesPerEU: 22
; NumVGPRsForWavesPerEU: 9
; NamedBarCnt: 0
; Occupancy: 16
; WaveLimiterHint : 1
; COMPUTE_PGM_RSRC2:SCRATCH_EN: 0
; COMPUTE_PGM_RSRC2:USER_SGPR: 2
; COMPUTE_PGM_RSRC2:TRAP_HANDLER: 0
; COMPUTE_PGM_RSRC2:TGID_X_EN: 1
; COMPUTE_PGM_RSRC2:TGID_Y_EN: 0
; COMPUTE_PGM_RSRC2:TGID_Z_EN: 0
; COMPUTE_PGM_RSRC2:TIDIG_COMP_CNT: 0
	.section	.text._ZN9rocsparseL22gebsrmvn_mxn_16_kernelILj120ELj15ELj8EfEEvi20rocsparse_direction_NS_24const_host_device_scalarIT2_EEPKiS6_PKS3_iiS8_S4_PS3_21rocsparse_index_base_b,"axG",@progbits,_ZN9rocsparseL22gebsrmvn_mxn_16_kernelILj120ELj15ELj8EfEEvi20rocsparse_direction_NS_24const_host_device_scalarIT2_EEPKiS6_PKS3_iiS8_S4_PS3_21rocsparse_index_base_b,comdat
	.globl	_ZN9rocsparseL22gebsrmvn_mxn_16_kernelILj120ELj15ELj8EfEEvi20rocsparse_direction_NS_24const_host_device_scalarIT2_EEPKiS6_PKS3_iiS8_S4_PS3_21rocsparse_index_base_b ; -- Begin function _ZN9rocsparseL22gebsrmvn_mxn_16_kernelILj120ELj15ELj8EfEEvi20rocsparse_direction_NS_24const_host_device_scalarIT2_EEPKiS6_PKS3_iiS8_S4_PS3_21rocsparse_index_base_b
	.p2align	8
	.type	_ZN9rocsparseL22gebsrmvn_mxn_16_kernelILj120ELj15ELj8EfEEvi20rocsparse_direction_NS_24const_host_device_scalarIT2_EEPKiS6_PKS3_iiS8_S4_PS3_21rocsparse_index_base_b,@function
_ZN9rocsparseL22gebsrmvn_mxn_16_kernelILj120ELj15ELj8EfEEvi20rocsparse_direction_NS_24const_host_device_scalarIT2_EEPKiS6_PKS3_iiS8_S4_PS3_21rocsparse_index_base_b: ; @_ZN9rocsparseL22gebsrmvn_mxn_16_kernelILj120ELj15ELj8EfEEvi20rocsparse_direction_NS_24const_host_device_scalarIT2_EEPKiS6_PKS3_iiS8_S4_PS3_21rocsparse_index_base_b
; %bb.0:
	s_clause 0x2
	s_load_b64 s[14:15], s[0:1], 0x48
	s_load_b64 s[8:9], s[0:1], 0x8
	;; [unrolled: 1-line block ×3, first 2 shown]
	s_wait_kmcnt 0x0
	s_bitcmp1_b32 s15, 0
	s_cselect_b32 s4, -1, 0
	s_delay_alu instid0(SALU_CYCLE_1)
	s_and_b32 vcc_lo, exec_lo, s4
	s_xor_b32 s4, s4, -1
	s_cbranch_vccnz .LBB25_2
; %bb.1:
	s_load_b32 s8, s[8:9], 0x0
.LBB25_2:
	s_and_not1_b32 vcc_lo, exec_lo, s4
	s_cbranch_vccnz .LBB25_4
; %bb.3:
	s_load_b32 s2, s[2:3], 0x0
.LBB25_4:
	s_wait_kmcnt 0x0
	s_cmp_eq_f32 s8, 0
	s_cselect_b32 s3, -1, 0
	s_cmp_eq_f32 s2, 1.0
	s_cselect_b32 s4, -1, 0
	s_delay_alu instid0(SALU_CYCLE_1) | instskip(NEXT) | instid1(SALU_CYCLE_1)
	s_and_b32 s3, s3, s4
	s_and_b32 vcc_lo, exec_lo, s3
	s_cbranch_vccnz .LBB25_36
; %bb.5:
	s_clause 0x1
	s_load_b32 s3, s[0:1], 0x4
	s_load_b64 s[4:5], s[0:1], 0x10
	v_and_b32_e32 v3, 7, v0
	s_delay_alu instid0(VALU_DEP_1) | instskip(SKIP_3) | instid1(SALU_CYCLE_1)
	v_mov_b32_e32 v2, v3
	s_wait_kmcnt 0x0
	s_cmp_lg_u32 s3, 1
	s_cselect_b32 s3, -1, 0
	s_and_b32 vcc_lo, exec_lo, s3
	s_cbranch_vccnz .LBB25_7
; %bb.6:
	v_mul_u32_u24_e32 v1, 0x1112, v0
	s_delay_alu instid0(VALU_DEP_1)
	v_bfe_u32 v2, v1, 16, 3
.LBB25_7:
	s_bfe_u32 s6, ttmp6, 0x4000c
	s_and_b32 s7, ttmp6, 15
	s_add_co_i32 s6, s6, 1
	s_getreg_b32 s9, hwreg(HW_REG_IB_STS2, 6, 4)
	s_mul_i32 s6, ttmp9, s6
	v_mov_b32_e32 v1, 0
	s_add_co_i32 s7, s7, s6
	s_cmp_eq_u32 s9, 0
	s_cselect_b32 s12, ttmp9, s7
	s_delay_alu instid0(SALU_CYCLE_1) | instskip(NEXT) | instid1(SALU_CYCLE_1)
	s_ashr_i32 s13, s12, 31
	s_lshl_b64 s[6:7], s[12:13], 2
	s_delay_alu instid0(SALU_CYCLE_1)
	s_add_nc_u64 s[4:5], s[4:5], s[6:7]
	s_load_b64 s[18:19], s[4:5], 0x0
	s_load_b64 s[10:11], s[0:1], 0x40
	s_wait_kmcnt 0x0
	s_cmp_ge_i32 s18, s19
	s_cbranch_scc1 .LBB25_12
; %bb.8:
	s_clause 0x1
	s_load_b128 s[4:7], s[0:1], 0x18
	s_load_b64 s[16:17], s[0:1], 0x30
	v_mad_u32 v1, 0x78, s18, v0
	v_mul_u32_u24_e32 v4, 0x223, v0
	s_wait_xcnt 0x0
	s_mul_i32 s0, s14, 0x78
	s_sub_co_i32 s1, s18, s14
	s_delay_alu instid0(VALU_DEP_1) | instskip(NEXT) | instid1(VALU_DEP_3)
	v_lshrrev_b32_e32 v4, 16, v4
	v_subrev_nc_u32_e32 v5, s0, v1
	v_mov_b32_e32 v1, 0
	s_sub_co_i32 s0, s19, s14
	s_branch .LBB25_10
.LBB25_9:                               ;   in Loop: Header=BB25_10 Depth=1
	s_or_b32 exec_lo, exec_lo, s9
	v_add_nc_u32_e32 v5, 0x78, v5
	s_add_co_i32 s1, s1, 1
	s_delay_alu instid0(SALU_CYCLE_1)
	s_cmp_ge_i32 s1, s0
	s_cbranch_scc1 .LBB25_12
.LBB25_10:                              ; =>This Inner Loop Header: Depth=1
	v_add_nc_u32_e32 v6, s1, v4
	s_mov_b32 s9, exec_lo
	s_delay_alu instid0(VALU_DEP_1)
	v_cmpx_gt_i32_e64 s0, v6
	s_cbranch_execz .LBB25_9
; %bb.11:                               ;   in Loop: Header=BB25_10 Depth=1
	s_wait_kmcnt 0x0
	global_load_b32 v6, v6, s[4:5] scale_offset
	s_wait_loadcnt 0x0
	v_subrev_nc_u32_e32 v6, s14, v6
	s_delay_alu instid0(VALU_DEP_1)
	v_lshl_or_b32 v6, v6, 3, v2
	global_load_b32 v7, v5, s[6:7] scale_offset
	global_load_b32 v8, v6, s[16:17] scale_offset
	s_wait_loadcnt 0x0
	v_fmac_f32_e32 v1, v7, v8
	s_branch .LBB25_9
.LBB25_12:
	v_lshlrev_b32_e32 v2, 2, v0
	s_and_b32 vcc_lo, exec_lo, s3
	ds_store_b32 v2, v1
	s_wait_dscnt 0x0
	s_barrier_signal -1
	s_barrier_wait -1
	s_cbranch_vccz .LBB25_22
; %bb.13:
	s_mov_b32 s0, exec_lo
	v_cmpx_gt_u32_e32 4, v3
	s_cbranch_execz .LBB25_15
; %bb.14:
	ds_load_2addr_b32 v[4:5], v2 offset1:4
	s_wait_dscnt 0x0
	v_add_f32_e32 v4, v5, v4
	ds_store_b32 v2, v4
.LBB25_15:
	s_or_b32 exec_lo, exec_lo, s0
	s_delay_alu instid0(SALU_CYCLE_1)
	s_mov_b32 s0, exec_lo
	s_wait_dscnt 0x0
	s_barrier_signal -1
	s_barrier_wait -1
	v_cmpx_gt_u32_e32 2, v3
	s_cbranch_execz .LBB25_17
; %bb.16:
	ds_load_2addr_b32 v[4:5], v2 offset1:2
	s_wait_dscnt 0x0
	v_add_f32_e32 v4, v5, v4
	ds_store_b32 v2, v4
.LBB25_17:
	s_or_b32 exec_lo, exec_lo, s0
	s_delay_alu instid0(SALU_CYCLE_1)
	s_mov_b32 s0, exec_lo
	s_wait_dscnt 0x0
	s_barrier_signal -1
	s_barrier_wait -1
	v_cmpx_eq_u32_e32 0, v3
	s_cbranch_execz .LBB25_19
; %bb.18:
	ds_load_2addr_b32 v[4:5], v2 offset1:1
	s_wait_dscnt 0x0
	v_add_f32_e32 v3, v5, v4
	ds_store_b32 v2, v3
.LBB25_19:
	s_or_b32 exec_lo, exec_lo, s0
	v_mov_b32_e32 v3, v1
	s_mov_b32 s0, exec_lo
	s_wait_dscnt 0x0
	s_barrier_signal -1
	s_barrier_wait -1
	v_cmpx_gt_u32_e32 15, v0
; %bb.20:
	v_mad_u32_u24 v3, v0, 28, v2
	ds_load_b32 v3, v3
; %bb.21:
	s_or_b32 exec_lo, exec_lo, s0
	s_branch .LBB25_32
.LBB25_22:
                                        ; implicit-def: $vgpr3
	s_cbranch_execz .LBB25_32
; %bb.23:
	s_mov_b32 s0, exec_lo
	v_cmpx_gt_u32_e32 60, v0
	s_cbranch_execz .LBB25_25
; %bb.24:
	ds_load_2addr_b32 v[4:5], v2 offset1:60
	s_wait_dscnt 0x0
	v_add_f32_e32 v3, v5, v4
	ds_store_b32 v2, v3
.LBB25_25:
	s_or_b32 exec_lo, exec_lo, s0
	s_delay_alu instid0(SALU_CYCLE_1)
	s_mov_b32 s0, exec_lo
	s_wait_dscnt 0x0
	s_barrier_signal -1
	s_barrier_wait -1
	v_cmpx_gt_u32_e32 30, v0
	s_cbranch_execz .LBB25_27
; %bb.26:
	ds_load_2addr_b32 v[4:5], v2 offset1:30
	s_wait_dscnt 0x0
	v_add_f32_e32 v3, v5, v4
	ds_store_b32 v2, v3
.LBB25_27:
	s_or_b32 exec_lo, exec_lo, s0
	s_delay_alu instid0(SALU_CYCLE_1)
	s_mov_b32 s0, exec_lo
	s_wait_dscnt 0x0
	v_cmpx_lt_u32_e32 14, v0
	s_xor_b32 s0, exec_lo, s0
; %bb.28:
                                        ; implicit-def: $vgpr2
; %bb.29:
	s_delay_alu instid0(SALU_CYCLE_1)
	s_and_not1_saveexec_b32 s0, s0
	s_cbranch_execz .LBB25_31
; %bb.30:
	ds_load_2addr_b32 v[4:5], v2 offset1:15
	s_wait_dscnt 0x0
	v_add_f32_e32 v1, v5, v4
	ds_store_b32 v2, v1
	s_wait_dscnt 0x0
	ds_load_b32 v1, v2
.LBB25_31:
	s_or_b32 exec_lo, exec_lo, s0
	s_wait_dscnt 0x0
	v_mov_b32_e32 v3, v1
.LBB25_32:
	s_mov_b32 s0, exec_lo
	v_cmpx_gt_u32_e32 15, v0
	s_cbranch_execz .LBB25_36
; %bb.33:
	v_mad_u32 v0, s12, 15, v0
	s_wait_dscnt 0x0
	v_mul_f32_e32 v1, s8, v3
	s_cmp_eq_f32 s2, 0
	s_mov_b32 s0, 0
	s_cbranch_scc0 .LBB25_37
; %bb.34:
	global_store_b32 v0, v1, s[10:11] scale_offset
	s_and_not1_b32 vcc_lo, exec_lo, s0
	s_cbranch_vccnz .LBB25_36
.LBB25_35:
	global_load_b32 v2, v0, s[10:11] scale_offset
	s_wait_loadcnt 0x0
	s_wait_xcnt 0x1
	v_fmac_f32_e32 v1, s2, v2
	global_store_b32 v0, v1, s[10:11] scale_offset
.LBB25_36:
	s_endpgm
.LBB25_37:
	s_branch .LBB25_35
	.section	.rodata,"a",@progbits
	.p2align	6, 0x0
	.amdhsa_kernel _ZN9rocsparseL22gebsrmvn_mxn_16_kernelILj120ELj15ELj8EfEEvi20rocsparse_direction_NS_24const_host_device_scalarIT2_EEPKiS6_PKS3_iiS8_S4_PS3_21rocsparse_index_base_b
		.amdhsa_group_segment_fixed_size 480
		.amdhsa_private_segment_fixed_size 0
		.amdhsa_kernarg_size 80
		.amdhsa_user_sgpr_count 2
		.amdhsa_user_sgpr_dispatch_ptr 0
		.amdhsa_user_sgpr_queue_ptr 0
		.amdhsa_user_sgpr_kernarg_segment_ptr 1
		.amdhsa_user_sgpr_dispatch_id 0
		.amdhsa_user_sgpr_kernarg_preload_length 0
		.amdhsa_user_sgpr_kernarg_preload_offset 0
		.amdhsa_user_sgpr_private_segment_size 0
		.amdhsa_wavefront_size32 1
		.amdhsa_uses_dynamic_stack 0
		.amdhsa_enable_private_segment 0
		.amdhsa_system_sgpr_workgroup_id_x 1
		.amdhsa_system_sgpr_workgroup_id_y 0
		.amdhsa_system_sgpr_workgroup_id_z 0
		.amdhsa_system_sgpr_workgroup_info 0
		.amdhsa_system_vgpr_workitem_id 0
		.amdhsa_next_free_vgpr 9
		.amdhsa_next_free_sgpr 20
		.amdhsa_named_barrier_count 0
		.amdhsa_reserve_vcc 1
		.amdhsa_float_round_mode_32 0
		.amdhsa_float_round_mode_16_64 0
		.amdhsa_float_denorm_mode_32 3
		.amdhsa_float_denorm_mode_16_64 3
		.amdhsa_fp16_overflow 0
		.amdhsa_memory_ordered 1
		.amdhsa_forward_progress 1
		.amdhsa_inst_pref_size 8
		.amdhsa_round_robin_scheduling 0
		.amdhsa_exception_fp_ieee_invalid_op 0
		.amdhsa_exception_fp_denorm_src 0
		.amdhsa_exception_fp_ieee_div_zero 0
		.amdhsa_exception_fp_ieee_overflow 0
		.amdhsa_exception_fp_ieee_underflow 0
		.amdhsa_exception_fp_ieee_inexact 0
		.amdhsa_exception_int_div_zero 0
	.end_amdhsa_kernel
	.section	.text._ZN9rocsparseL22gebsrmvn_mxn_16_kernelILj120ELj15ELj8EfEEvi20rocsparse_direction_NS_24const_host_device_scalarIT2_EEPKiS6_PKS3_iiS8_S4_PS3_21rocsparse_index_base_b,"axG",@progbits,_ZN9rocsparseL22gebsrmvn_mxn_16_kernelILj120ELj15ELj8EfEEvi20rocsparse_direction_NS_24const_host_device_scalarIT2_EEPKiS6_PKS3_iiS8_S4_PS3_21rocsparse_index_base_b,comdat
.Lfunc_end25:
	.size	_ZN9rocsparseL22gebsrmvn_mxn_16_kernelILj120ELj15ELj8EfEEvi20rocsparse_direction_NS_24const_host_device_scalarIT2_EEPKiS6_PKS3_iiS8_S4_PS3_21rocsparse_index_base_b, .Lfunc_end25-_ZN9rocsparseL22gebsrmvn_mxn_16_kernelILj120ELj15ELj8EfEEvi20rocsparse_direction_NS_24const_host_device_scalarIT2_EEPKiS6_PKS3_iiS8_S4_PS3_21rocsparse_index_base_b
                                        ; -- End function
	.set _ZN9rocsparseL22gebsrmvn_mxn_16_kernelILj120ELj15ELj8EfEEvi20rocsparse_direction_NS_24const_host_device_scalarIT2_EEPKiS6_PKS3_iiS8_S4_PS3_21rocsparse_index_base_b.num_vgpr, 9
	.set _ZN9rocsparseL22gebsrmvn_mxn_16_kernelILj120ELj15ELj8EfEEvi20rocsparse_direction_NS_24const_host_device_scalarIT2_EEPKiS6_PKS3_iiS8_S4_PS3_21rocsparse_index_base_b.num_agpr, 0
	.set _ZN9rocsparseL22gebsrmvn_mxn_16_kernelILj120ELj15ELj8EfEEvi20rocsparse_direction_NS_24const_host_device_scalarIT2_EEPKiS6_PKS3_iiS8_S4_PS3_21rocsparse_index_base_b.numbered_sgpr, 20
	.set _ZN9rocsparseL22gebsrmvn_mxn_16_kernelILj120ELj15ELj8EfEEvi20rocsparse_direction_NS_24const_host_device_scalarIT2_EEPKiS6_PKS3_iiS8_S4_PS3_21rocsparse_index_base_b.num_named_barrier, 0
	.set _ZN9rocsparseL22gebsrmvn_mxn_16_kernelILj120ELj15ELj8EfEEvi20rocsparse_direction_NS_24const_host_device_scalarIT2_EEPKiS6_PKS3_iiS8_S4_PS3_21rocsparse_index_base_b.private_seg_size, 0
	.set _ZN9rocsparseL22gebsrmvn_mxn_16_kernelILj120ELj15ELj8EfEEvi20rocsparse_direction_NS_24const_host_device_scalarIT2_EEPKiS6_PKS3_iiS8_S4_PS3_21rocsparse_index_base_b.uses_vcc, 1
	.set _ZN9rocsparseL22gebsrmvn_mxn_16_kernelILj120ELj15ELj8EfEEvi20rocsparse_direction_NS_24const_host_device_scalarIT2_EEPKiS6_PKS3_iiS8_S4_PS3_21rocsparse_index_base_b.uses_flat_scratch, 0
	.set _ZN9rocsparseL22gebsrmvn_mxn_16_kernelILj120ELj15ELj8EfEEvi20rocsparse_direction_NS_24const_host_device_scalarIT2_EEPKiS6_PKS3_iiS8_S4_PS3_21rocsparse_index_base_b.has_dyn_sized_stack, 0
	.set _ZN9rocsparseL22gebsrmvn_mxn_16_kernelILj120ELj15ELj8EfEEvi20rocsparse_direction_NS_24const_host_device_scalarIT2_EEPKiS6_PKS3_iiS8_S4_PS3_21rocsparse_index_base_b.has_recursion, 0
	.set _ZN9rocsparseL22gebsrmvn_mxn_16_kernelILj120ELj15ELj8EfEEvi20rocsparse_direction_NS_24const_host_device_scalarIT2_EEPKiS6_PKS3_iiS8_S4_PS3_21rocsparse_index_base_b.has_indirect_call, 0
	.section	.AMDGPU.csdata,"",@progbits
; Kernel info:
; codeLenInByte = 996
; TotalNumSgprs: 22
; NumVgprs: 9
; ScratchSize: 0
; MemoryBound: 0
; FloatMode: 240
; IeeeMode: 1
; LDSByteSize: 480 bytes/workgroup (compile time only)
; SGPRBlocks: 0
; VGPRBlocks: 0
; NumSGPRsForWavesPerEU: 22
; NumVGPRsForWavesPerEU: 9
; NamedBarCnt: 0
; Occupancy: 16
; WaveLimiterHint : 1
; COMPUTE_PGM_RSRC2:SCRATCH_EN: 0
; COMPUTE_PGM_RSRC2:USER_SGPR: 2
; COMPUTE_PGM_RSRC2:TRAP_HANDLER: 0
; COMPUTE_PGM_RSRC2:TGID_X_EN: 1
; COMPUTE_PGM_RSRC2:TGID_Y_EN: 0
; COMPUTE_PGM_RSRC2:TGID_Z_EN: 0
; COMPUTE_PGM_RSRC2:TIDIG_COMP_CNT: 0
	.section	.text._ZN9rocsparseL22gebsrmvn_mxn_16_kernelILj64ELj16ELj1EfEEvi20rocsparse_direction_NS_24const_host_device_scalarIT2_EEPKiS6_PKS3_iiS8_S4_PS3_21rocsparse_index_base_b,"axG",@progbits,_ZN9rocsparseL22gebsrmvn_mxn_16_kernelILj64ELj16ELj1EfEEvi20rocsparse_direction_NS_24const_host_device_scalarIT2_EEPKiS6_PKS3_iiS8_S4_PS3_21rocsparse_index_base_b,comdat
	.globl	_ZN9rocsparseL22gebsrmvn_mxn_16_kernelILj64ELj16ELj1EfEEvi20rocsparse_direction_NS_24const_host_device_scalarIT2_EEPKiS6_PKS3_iiS8_S4_PS3_21rocsparse_index_base_b ; -- Begin function _ZN9rocsparseL22gebsrmvn_mxn_16_kernelILj64ELj16ELj1EfEEvi20rocsparse_direction_NS_24const_host_device_scalarIT2_EEPKiS6_PKS3_iiS8_S4_PS3_21rocsparse_index_base_b
	.p2align	8
	.type	_ZN9rocsparseL22gebsrmvn_mxn_16_kernelILj64ELj16ELj1EfEEvi20rocsparse_direction_NS_24const_host_device_scalarIT2_EEPKiS6_PKS3_iiS8_S4_PS3_21rocsparse_index_base_b,@function
_ZN9rocsparseL22gebsrmvn_mxn_16_kernelILj64ELj16ELj1EfEEvi20rocsparse_direction_NS_24const_host_device_scalarIT2_EEPKiS6_PKS3_iiS8_S4_PS3_21rocsparse_index_base_b: ; @_ZN9rocsparseL22gebsrmvn_mxn_16_kernelILj64ELj16ELj1EfEEvi20rocsparse_direction_NS_24const_host_device_scalarIT2_EEPKiS6_PKS3_iiS8_S4_PS3_21rocsparse_index_base_b
; %bb.0:
	s_clause 0x2
	s_load_b64 s[14:15], s[0:1], 0x48
	s_load_b64 s[8:9], s[0:1], 0x8
	;; [unrolled: 1-line block ×3, first 2 shown]
	s_wait_kmcnt 0x0
	s_bitcmp1_b32 s15, 0
	s_cselect_b32 s4, -1, 0
	s_delay_alu instid0(SALU_CYCLE_1)
	s_and_b32 vcc_lo, exec_lo, s4
	s_xor_b32 s4, s4, -1
	s_cbranch_vccnz .LBB26_2
; %bb.1:
	s_load_b32 s8, s[8:9], 0x0
.LBB26_2:
	s_and_not1_b32 vcc_lo, exec_lo, s4
	s_cbranch_vccnz .LBB26_4
; %bb.3:
	s_load_b32 s2, s[2:3], 0x0
.LBB26_4:
	s_wait_kmcnt 0x0
	s_cmp_eq_f32 s8, 0
	s_cselect_b32 s3, -1, 0
	s_cmp_eq_f32 s2, 1.0
	s_cselect_b32 s4, -1, 0
	s_delay_alu instid0(SALU_CYCLE_1) | instskip(NEXT) | instid1(SALU_CYCLE_1)
	s_and_b32 s3, s3, s4
	s_and_b32 vcc_lo, exec_lo, s3
	s_cbranch_vccnz .LBB26_20
; %bb.5:
	s_load_b64 s[4:5], s[0:1], 0x10
	s_bfe_u32 s3, ttmp6, 0x4000c
	s_and_b32 s6, ttmp6, 15
	s_add_co_i32 s3, s3, 1
	s_getreg_b32 s7, hwreg(HW_REG_IB_STS2, 6, 4)
	s_mul_i32 s3, ttmp9, s3
	s_delay_alu instid0(SALU_CYCLE_1) | instskip(SKIP_2) | instid1(SALU_CYCLE_1)
	s_add_co_i32 s6, s6, s3
	s_cmp_eq_u32 s7, 0
	s_cselect_b32 s12, ttmp9, s6
	s_ashr_i32 s13, s12, 31
	s_delay_alu instid0(SALU_CYCLE_1)
	s_lshl_b64 s[6:7], s[12:13], 2
	s_wait_kmcnt 0x0
	s_add_nc_u64 s[4:5], s[4:5], s[6:7]
	s_load_b64 s[18:19], s[4:5], 0x0
	s_wait_kmcnt 0x0
	s_cmp_lt_i32 s18, s19
	s_cbranch_scc1 .LBB26_7
; %bb.6:
	s_load_b64 s[10:11], s[0:1], 0x40
	v_mov_b32_e32 v1, 0
	s_cbranch_execz .LBB26_8
	s_branch .LBB26_12
.LBB26_7:
	s_load_b64 s[10:11], s[0:1], 0x40
	v_mov_b32_e32 v1, 0
.LBB26_8:
	s_clause 0x1
	s_load_b128 s[4:7], s[0:1], 0x18
	s_load_b64 s[16:17], s[0:1], 0x30
	v_lshl_add_u32 v1, s18, 4, v0
	s_wait_xcnt 0x0
	s_lshl_b32 s0, s14, 4
	v_lshrrev_b32_e32 v2, 4, v0
	s_sub_co_i32 s1, s18, s14
	v_subrev_nc_u32_e32 v3, s0, v1
	v_mov_b32_e32 v1, 0
	s_sub_co_i32 s0, s19, s14
	s_branch .LBB26_10
.LBB26_9:                               ;   in Loop: Header=BB26_10 Depth=1
	s_or_b32 exec_lo, exec_lo, s3
	v_add_nc_u32_e32 v3, 64, v3
	s_add_co_i32 s1, s1, 4
	s_delay_alu instid0(SALU_CYCLE_1)
	s_cmp_ge_i32 s1, s0
	s_cbranch_scc1 .LBB26_12
.LBB26_10:                              ; =>This Inner Loop Header: Depth=1
	v_add_nc_u32_e32 v4, s1, v2
	s_mov_b32 s3, exec_lo
	s_delay_alu instid0(VALU_DEP_1)
	v_cmpx_gt_i32_e64 s0, v4
	s_cbranch_execz .LBB26_9
; %bb.11:                               ;   in Loop: Header=BB26_10 Depth=1
	s_wait_kmcnt 0x0
	global_load_b32 v4, v4, s[4:5] scale_offset
	s_wait_loadcnt 0x0
	v_subrev_nc_u32_e32 v4, s14, v4
	global_load_b32 v5, v3, s[6:7] scale_offset
	global_load_b32 v6, v4, s[16:17] scale_offset
	s_wait_loadcnt 0x0
	v_fmac_f32_e32 v1, v5, v6
	s_branch .LBB26_9
.LBB26_12:
	v_lshlrev_b32_e32 v2, 2, v0
	s_wait_xcnt 0x0
	s_mov_b32 s0, exec_lo
	ds_store_b32 v2, v1
	s_wait_dscnt 0x0
	s_barrier_signal -1
	s_barrier_wait -1
	v_cmpx_gt_u32_e32 32, v0
	s_cbranch_execz .LBB26_14
; %bb.13:
	ds_load_2addr_b32 v[4:5], v2 offset1:32
	s_wait_dscnt 0x0
	v_add_f32_e32 v1, v5, v4
	ds_store_b32 v2, v1
.LBB26_14:
	s_or_b32 exec_lo, exec_lo, s0
	v_cmp_gt_u32_e32 vcc_lo, 16, v0
	s_wait_dscnt 0x0
	s_barrier_signal -1
	s_barrier_wait -1
	s_and_saveexec_b32 s0, vcc_lo
	s_cbranch_execz .LBB26_16
; %bb.15:
	ds_load_2addr_b32 v[4:5], v2 offset1:16
	s_wait_dscnt 0x0
	v_add_f32_e32 v1, v5, v4
	ds_store_b32 v2, v1
.LBB26_16:
	s_or_b32 exec_lo, exec_lo, s0
	s_wait_dscnt 0x0
	s_barrier_signal -1
	s_barrier_wait -1
	s_and_saveexec_b32 s0, vcc_lo
	s_cbranch_execz .LBB26_20
; %bb.17:
	ds_load_b32 v1, v2
	v_lshl_or_b32 v0, s12, 4, v0
	s_cmp_eq_f32 s2, 0
	s_mov_b32 s0, 0
	s_wait_dscnt 0x0
	v_mul_f32_e32 v1, s8, v1
	s_cbranch_scc0 .LBB26_21
; %bb.18:
	s_wait_kmcnt 0x0
	global_store_b32 v0, v1, s[10:11] scale_offset
	s_and_not1_b32 vcc_lo, exec_lo, s0
	s_cbranch_vccnz .LBB26_20
.LBB26_19:
	s_wait_kmcnt 0x0
	global_load_b32 v2, v0, s[10:11] scale_offset
	s_wait_loadcnt 0x0
	s_wait_xcnt 0x1
	v_fmac_f32_e32 v1, s2, v2
	global_store_b32 v0, v1, s[10:11] scale_offset
.LBB26_20:
	s_endpgm
.LBB26_21:
	s_branch .LBB26_19
	.section	.rodata,"a",@progbits
	.p2align	6, 0x0
	.amdhsa_kernel _ZN9rocsparseL22gebsrmvn_mxn_16_kernelILj64ELj16ELj1EfEEvi20rocsparse_direction_NS_24const_host_device_scalarIT2_EEPKiS6_PKS3_iiS8_S4_PS3_21rocsparse_index_base_b
		.amdhsa_group_segment_fixed_size 256
		.amdhsa_private_segment_fixed_size 0
		.amdhsa_kernarg_size 80
		.amdhsa_user_sgpr_count 2
		.amdhsa_user_sgpr_dispatch_ptr 0
		.amdhsa_user_sgpr_queue_ptr 0
		.amdhsa_user_sgpr_kernarg_segment_ptr 1
		.amdhsa_user_sgpr_dispatch_id 0
		.amdhsa_user_sgpr_kernarg_preload_length 0
		.amdhsa_user_sgpr_kernarg_preload_offset 0
		.amdhsa_user_sgpr_private_segment_size 0
		.amdhsa_wavefront_size32 1
		.amdhsa_uses_dynamic_stack 0
		.amdhsa_enable_private_segment 0
		.amdhsa_system_sgpr_workgroup_id_x 1
		.amdhsa_system_sgpr_workgroup_id_y 0
		.amdhsa_system_sgpr_workgroup_id_z 0
		.amdhsa_system_sgpr_workgroup_info 0
		.amdhsa_system_vgpr_workitem_id 0
		.amdhsa_next_free_vgpr 7
		.amdhsa_next_free_sgpr 20
		.amdhsa_named_barrier_count 0
		.amdhsa_reserve_vcc 1
		.amdhsa_float_round_mode_32 0
		.amdhsa_float_round_mode_16_64 0
		.amdhsa_float_denorm_mode_32 3
		.amdhsa_float_denorm_mode_16_64 3
		.amdhsa_fp16_overflow 0
		.amdhsa_memory_ordered 1
		.amdhsa_forward_progress 1
		.amdhsa_inst_pref_size 6
		.amdhsa_round_robin_scheduling 0
		.amdhsa_exception_fp_ieee_invalid_op 0
		.amdhsa_exception_fp_denorm_src 0
		.amdhsa_exception_fp_ieee_div_zero 0
		.amdhsa_exception_fp_ieee_overflow 0
		.amdhsa_exception_fp_ieee_underflow 0
		.amdhsa_exception_fp_ieee_inexact 0
		.amdhsa_exception_int_div_zero 0
	.end_amdhsa_kernel
	.section	.text._ZN9rocsparseL22gebsrmvn_mxn_16_kernelILj64ELj16ELj1EfEEvi20rocsparse_direction_NS_24const_host_device_scalarIT2_EEPKiS6_PKS3_iiS8_S4_PS3_21rocsparse_index_base_b,"axG",@progbits,_ZN9rocsparseL22gebsrmvn_mxn_16_kernelILj64ELj16ELj1EfEEvi20rocsparse_direction_NS_24const_host_device_scalarIT2_EEPKiS6_PKS3_iiS8_S4_PS3_21rocsparse_index_base_b,comdat
.Lfunc_end26:
	.size	_ZN9rocsparseL22gebsrmvn_mxn_16_kernelILj64ELj16ELj1EfEEvi20rocsparse_direction_NS_24const_host_device_scalarIT2_EEPKiS6_PKS3_iiS8_S4_PS3_21rocsparse_index_base_b, .Lfunc_end26-_ZN9rocsparseL22gebsrmvn_mxn_16_kernelILj64ELj16ELj1EfEEvi20rocsparse_direction_NS_24const_host_device_scalarIT2_EEPKiS6_PKS3_iiS8_S4_PS3_21rocsparse_index_base_b
                                        ; -- End function
	.set _ZN9rocsparseL22gebsrmvn_mxn_16_kernelILj64ELj16ELj1EfEEvi20rocsparse_direction_NS_24const_host_device_scalarIT2_EEPKiS6_PKS3_iiS8_S4_PS3_21rocsparse_index_base_b.num_vgpr, 7
	.set _ZN9rocsparseL22gebsrmvn_mxn_16_kernelILj64ELj16ELj1EfEEvi20rocsparse_direction_NS_24const_host_device_scalarIT2_EEPKiS6_PKS3_iiS8_S4_PS3_21rocsparse_index_base_b.num_agpr, 0
	.set _ZN9rocsparseL22gebsrmvn_mxn_16_kernelILj64ELj16ELj1EfEEvi20rocsparse_direction_NS_24const_host_device_scalarIT2_EEPKiS6_PKS3_iiS8_S4_PS3_21rocsparse_index_base_b.numbered_sgpr, 20
	.set _ZN9rocsparseL22gebsrmvn_mxn_16_kernelILj64ELj16ELj1EfEEvi20rocsparse_direction_NS_24const_host_device_scalarIT2_EEPKiS6_PKS3_iiS8_S4_PS3_21rocsparse_index_base_b.num_named_barrier, 0
	.set _ZN9rocsparseL22gebsrmvn_mxn_16_kernelILj64ELj16ELj1EfEEvi20rocsparse_direction_NS_24const_host_device_scalarIT2_EEPKiS6_PKS3_iiS8_S4_PS3_21rocsparse_index_base_b.private_seg_size, 0
	.set _ZN9rocsparseL22gebsrmvn_mxn_16_kernelILj64ELj16ELj1EfEEvi20rocsparse_direction_NS_24const_host_device_scalarIT2_EEPKiS6_PKS3_iiS8_S4_PS3_21rocsparse_index_base_b.uses_vcc, 1
	.set _ZN9rocsparseL22gebsrmvn_mxn_16_kernelILj64ELj16ELj1EfEEvi20rocsparse_direction_NS_24const_host_device_scalarIT2_EEPKiS6_PKS3_iiS8_S4_PS3_21rocsparse_index_base_b.uses_flat_scratch, 0
	.set _ZN9rocsparseL22gebsrmvn_mxn_16_kernelILj64ELj16ELj1EfEEvi20rocsparse_direction_NS_24const_host_device_scalarIT2_EEPKiS6_PKS3_iiS8_S4_PS3_21rocsparse_index_base_b.has_dyn_sized_stack, 0
	.set _ZN9rocsparseL22gebsrmvn_mxn_16_kernelILj64ELj16ELj1EfEEvi20rocsparse_direction_NS_24const_host_device_scalarIT2_EEPKiS6_PKS3_iiS8_S4_PS3_21rocsparse_index_base_b.has_recursion, 0
	.set _ZN9rocsparseL22gebsrmvn_mxn_16_kernelILj64ELj16ELj1EfEEvi20rocsparse_direction_NS_24const_host_device_scalarIT2_EEPKiS6_PKS3_iiS8_S4_PS3_21rocsparse_index_base_b.has_indirect_call, 0
	.section	.AMDGPU.csdata,"",@progbits
; Kernel info:
; codeLenInByte = 652
; TotalNumSgprs: 22
; NumVgprs: 7
; ScratchSize: 0
; MemoryBound: 0
; FloatMode: 240
; IeeeMode: 1
; LDSByteSize: 256 bytes/workgroup (compile time only)
; SGPRBlocks: 0
; VGPRBlocks: 0
; NumSGPRsForWavesPerEU: 22
; NumVGPRsForWavesPerEU: 7
; NamedBarCnt: 0
; Occupancy: 16
; WaveLimiterHint : 1
; COMPUTE_PGM_RSRC2:SCRATCH_EN: 0
; COMPUTE_PGM_RSRC2:USER_SGPR: 2
; COMPUTE_PGM_RSRC2:TRAP_HANDLER: 0
; COMPUTE_PGM_RSRC2:TGID_X_EN: 1
; COMPUTE_PGM_RSRC2:TGID_Y_EN: 0
; COMPUTE_PGM_RSRC2:TGID_Z_EN: 0
; COMPUTE_PGM_RSRC2:TIDIG_COMP_CNT: 0
	.section	.text._ZN9rocsparseL22gebsrmvn_mxn_16_kernelILj64ELj16ELj2EfEEvi20rocsparse_direction_NS_24const_host_device_scalarIT2_EEPKiS6_PKS3_iiS8_S4_PS3_21rocsparse_index_base_b,"axG",@progbits,_ZN9rocsparseL22gebsrmvn_mxn_16_kernelILj64ELj16ELj2EfEEvi20rocsparse_direction_NS_24const_host_device_scalarIT2_EEPKiS6_PKS3_iiS8_S4_PS3_21rocsparse_index_base_b,comdat
	.globl	_ZN9rocsparseL22gebsrmvn_mxn_16_kernelILj64ELj16ELj2EfEEvi20rocsparse_direction_NS_24const_host_device_scalarIT2_EEPKiS6_PKS3_iiS8_S4_PS3_21rocsparse_index_base_b ; -- Begin function _ZN9rocsparseL22gebsrmvn_mxn_16_kernelILj64ELj16ELj2EfEEvi20rocsparse_direction_NS_24const_host_device_scalarIT2_EEPKiS6_PKS3_iiS8_S4_PS3_21rocsparse_index_base_b
	.p2align	8
	.type	_ZN9rocsparseL22gebsrmvn_mxn_16_kernelILj64ELj16ELj2EfEEvi20rocsparse_direction_NS_24const_host_device_scalarIT2_EEPKiS6_PKS3_iiS8_S4_PS3_21rocsparse_index_base_b,@function
_ZN9rocsparseL22gebsrmvn_mxn_16_kernelILj64ELj16ELj2EfEEvi20rocsparse_direction_NS_24const_host_device_scalarIT2_EEPKiS6_PKS3_iiS8_S4_PS3_21rocsparse_index_base_b: ; @_ZN9rocsparseL22gebsrmvn_mxn_16_kernelILj64ELj16ELj2EfEEvi20rocsparse_direction_NS_24const_host_device_scalarIT2_EEPKiS6_PKS3_iiS8_S4_PS3_21rocsparse_index_base_b
; %bb.0:
	s_clause 0x2
	s_load_b64 s[14:15], s[0:1], 0x48
	s_load_b64 s[8:9], s[0:1], 0x8
	;; [unrolled: 1-line block ×3, first 2 shown]
	s_wait_kmcnt 0x0
	s_bitcmp1_b32 s15, 0
	s_cselect_b32 s4, -1, 0
	s_delay_alu instid0(SALU_CYCLE_1)
	s_and_b32 vcc_lo, exec_lo, s4
	s_xor_b32 s4, s4, -1
	s_cbranch_vccnz .LBB27_2
; %bb.1:
	s_load_b32 s8, s[8:9], 0x0
.LBB27_2:
	s_and_not1_b32 vcc_lo, exec_lo, s4
	s_cbranch_vccnz .LBB27_4
; %bb.3:
	s_load_b32 s2, s[2:3], 0x0
.LBB27_4:
	s_wait_kmcnt 0x0
	s_cmp_eq_f32 s8, 0
	s_cselect_b32 s3, -1, 0
	s_cmp_eq_f32 s2, 1.0
	s_cselect_b32 s4, -1, 0
	s_delay_alu instid0(SALU_CYCLE_1) | instskip(NEXT) | instid1(SALU_CYCLE_1)
	s_and_b32 s3, s3, s4
	s_and_b32 vcc_lo, exec_lo, s3
	s_cbranch_vccnz .LBB27_28
; %bb.5:
	s_clause 0x1
	s_load_b32 s3, s[0:1], 0x4
	s_load_b64 s[4:5], s[0:1], 0x10
	s_bfe_u32 s6, ttmp6, 0x4000c
	s_and_b32 s7, ttmp6, 15
	s_add_co_i32 s6, s6, 1
	s_getreg_b32 s9, hwreg(HW_REG_IB_STS2, 6, 4)
	s_mul_i32 s6, ttmp9, s6
	v_dual_mov_b32 v1, 0 :: v_dual_bitop2_b32 v3, 1, v0 bitop3:0x40
	s_add_co_i32 s7, s7, s6
	s_cmp_eq_u32 s9, 0
	s_cselect_b32 s12, ttmp9, s7
	s_wait_kmcnt 0x0
	s_cmp_eq_u32 s3, 1
	s_cselect_b32 vcc_lo, -1, 0
	s_cmp_lg_u32 s3, 1
	s_cselect_b32 s3, -1, 0
	s_ashr_i32 s13, s12, 31
	s_delay_alu instid0(SALU_CYCLE_1) | instskip(NEXT) | instid1(SALU_CYCLE_1)
	s_lshl_b64 s[6:7], s[12:13], 2
	s_add_nc_u64 s[4:5], s[4:5], s[6:7]
	s_load_b64 s[18:19], s[4:5], 0x0
	s_load_b64 s[10:11], s[0:1], 0x40
	s_wait_kmcnt 0x0
	s_cmp_ge_i32 s18, s19
	s_cbranch_scc1 .LBB27_10
; %bb.6:
	s_clause 0x1
	s_load_b128 s[4:7], s[0:1], 0x18
	s_load_b64 s[16:17], s[0:1], 0x30
	v_bfe_u32 v1, v0, 4, 1
	v_lshl_add_u32 v5, s18, 5, v0
	s_wait_xcnt 0x0
	s_lshl_b32 s0, s14, 5
	s_sub_co_i32 s1, s18, s14
	v_dual_lshrrev_b32 v4, 5, v0 :: v_dual_cndmask_b32 v2, v3, v1, vcc_lo
	v_subrev_nc_u32_e32 v5, s0, v5
	v_mov_b32_e32 v1, 0
	s_sub_co_i32 s0, s19, s14
	s_branch .LBB27_8
.LBB27_7:                               ;   in Loop: Header=BB27_8 Depth=1
	s_or_b32 exec_lo, exec_lo, s9
	v_add_nc_u32_e32 v5, 64, v5
	s_add_co_i32 s1, s1, 2
	s_delay_alu instid0(SALU_CYCLE_1)
	s_cmp_ge_i32 s1, s0
	s_cbranch_scc1 .LBB27_10
.LBB27_8:                               ; =>This Inner Loop Header: Depth=1
	v_add_nc_u32_e32 v6, s1, v4
	s_mov_b32 s9, exec_lo
	s_delay_alu instid0(VALU_DEP_1)
	v_cmpx_gt_i32_e64 s0, v6
	s_cbranch_execz .LBB27_7
; %bb.9:                                ;   in Loop: Header=BB27_8 Depth=1
	s_wait_kmcnt 0x0
	global_load_b32 v6, v6, s[4:5] scale_offset
	s_wait_loadcnt 0x0
	v_subrev_nc_u32_e32 v6, s14, v6
	s_delay_alu instid0(VALU_DEP_1)
	v_lshl_or_b32 v6, v6, 1, v2
	global_load_b32 v7, v5, s[6:7] scale_offset
	global_load_b32 v8, v6, s[16:17] scale_offset
	s_wait_loadcnt 0x0
	v_fmac_f32_e32 v1, v7, v8
	s_branch .LBB27_7
.LBB27_10:
	v_lshlrev_b32_e32 v2, 2, v0
	s_mov_b32 s0, exec_lo
	ds_store_b32 v2, v1
	s_wait_dscnt 0x0
	s_barrier_signal -1
	s_barrier_wait -1
	v_cmpx_gt_u32_e32 32, v0
	s_cbranch_execz .LBB27_12
; %bb.11:
	ds_load_2addr_b32 v[4:5], v2 offset1:32
	s_wait_dscnt 0x0
	v_add_f32_e32 v4, v5, v4
	ds_store_b32 v2, v4
.LBB27_12:
	s_or_b32 exec_lo, exec_lo, s0
	s_delay_alu instid0(SALU_CYCLE_1)
	s_and_b32 vcc_lo, exec_lo, s3
	s_wait_dscnt 0x0
	s_barrier_signal -1
	s_barrier_wait -1
	s_cbranch_vccz .LBB27_18
; %bb.13:
	s_mov_b32 s0, exec_lo
	v_cmpx_eq_u32_e32 0, v3
	s_cbranch_execz .LBB27_15
; %bb.14:
	ds_load_2addr_b32 v[4:5], v2 offset1:1
	s_wait_dscnt 0x0
	v_add_f32_e32 v3, v5, v4
	ds_store_b32 v2, v3
.LBB27_15:
	s_or_b32 exec_lo, exec_lo, s0
	v_mov_b32_e32 v3, v1
	s_mov_b32 s0, exec_lo
	s_wait_dscnt 0x0
	s_barrier_signal -1
	s_barrier_wait -1
	v_cmpx_gt_u32_e32 16, v0
; %bb.16:
	v_lshl_add_u32 v3, v0, 2, v2
	ds_load_b32 v3, v3
; %bb.17:
	s_or_b32 exec_lo, exec_lo, s0
	s_branch .LBB27_24
.LBB27_18:
                                        ; implicit-def: $vgpr3
	s_cbranch_execz .LBB27_24
; %bb.19:
	s_mov_b32 s0, exec_lo
	v_cmpx_lt_u32_e32 15, v0
	s_xor_b32 s0, exec_lo, s0
	s_cbranch_execz .LBB27_21
; %bb.20:
	s_wait_dscnt 0x0
                                        ; implicit-def: $vgpr2
.LBB27_21:
	s_and_not1_saveexec_b32 s0, s0
	s_cbranch_execz .LBB27_23
; %bb.22:
	ds_load_2addr_b32 v[4:5], v2 offset1:16
	s_wait_dscnt 0x0
	v_add_f32_e32 v1, v5, v4
	ds_store_b32 v2, v1
	s_wait_dscnt 0x0
	ds_load_b32 v1, v2
.LBB27_23:
	s_or_b32 exec_lo, exec_lo, s0
	s_wait_dscnt 0x0
	v_mov_b32_e32 v3, v1
.LBB27_24:
	s_mov_b32 s0, exec_lo
	v_cmpx_gt_u32_e32 16, v0
	s_cbranch_execz .LBB27_28
; %bb.25:
	s_wait_dscnt 0x0
	v_mul_f32_e32 v1, s8, v3
	v_lshl_or_b32 v0, s12, 4, v0
	s_cmp_eq_f32 s2, 0
	s_mov_b32 s0, 0
	s_cbranch_scc0 .LBB27_29
; %bb.26:
	global_store_b32 v0, v1, s[10:11] scale_offset
	s_and_not1_b32 vcc_lo, exec_lo, s0
	s_cbranch_vccnz .LBB27_28
.LBB27_27:
	global_load_b32 v2, v0, s[10:11] scale_offset
	s_wait_loadcnt 0x0
	s_wait_xcnt 0x1
	v_fmac_f32_e32 v1, s2, v2
	global_store_b32 v0, v1, s[10:11] scale_offset
.LBB27_28:
	s_endpgm
.LBB27_29:
	s_branch .LBB27_27
	.section	.rodata,"a",@progbits
	.p2align	6, 0x0
	.amdhsa_kernel _ZN9rocsparseL22gebsrmvn_mxn_16_kernelILj64ELj16ELj2EfEEvi20rocsparse_direction_NS_24const_host_device_scalarIT2_EEPKiS6_PKS3_iiS8_S4_PS3_21rocsparse_index_base_b
		.amdhsa_group_segment_fixed_size 256
		.amdhsa_private_segment_fixed_size 0
		.amdhsa_kernarg_size 80
		.amdhsa_user_sgpr_count 2
		.amdhsa_user_sgpr_dispatch_ptr 0
		.amdhsa_user_sgpr_queue_ptr 0
		.amdhsa_user_sgpr_kernarg_segment_ptr 1
		.amdhsa_user_sgpr_dispatch_id 0
		.amdhsa_user_sgpr_kernarg_preload_length 0
		.amdhsa_user_sgpr_kernarg_preload_offset 0
		.amdhsa_user_sgpr_private_segment_size 0
		.amdhsa_wavefront_size32 1
		.amdhsa_uses_dynamic_stack 0
		.amdhsa_enable_private_segment 0
		.amdhsa_system_sgpr_workgroup_id_x 1
		.amdhsa_system_sgpr_workgroup_id_y 0
		.amdhsa_system_sgpr_workgroup_id_z 0
		.amdhsa_system_sgpr_workgroup_info 0
		.amdhsa_system_vgpr_workitem_id 0
		.amdhsa_next_free_vgpr 9
		.amdhsa_next_free_sgpr 20
		.amdhsa_named_barrier_count 0
		.amdhsa_reserve_vcc 1
		.amdhsa_float_round_mode_32 0
		.amdhsa_float_round_mode_16_64 0
		.amdhsa_float_denorm_mode_32 3
		.amdhsa_float_denorm_mode_16_64 3
		.amdhsa_fp16_overflow 0
		.amdhsa_memory_ordered 1
		.amdhsa_forward_progress 1
		.amdhsa_inst_pref_size 7
		.amdhsa_round_robin_scheduling 0
		.amdhsa_exception_fp_ieee_invalid_op 0
		.amdhsa_exception_fp_denorm_src 0
		.amdhsa_exception_fp_ieee_div_zero 0
		.amdhsa_exception_fp_ieee_overflow 0
		.amdhsa_exception_fp_ieee_underflow 0
		.amdhsa_exception_fp_ieee_inexact 0
		.amdhsa_exception_int_div_zero 0
	.end_amdhsa_kernel
	.section	.text._ZN9rocsparseL22gebsrmvn_mxn_16_kernelILj64ELj16ELj2EfEEvi20rocsparse_direction_NS_24const_host_device_scalarIT2_EEPKiS6_PKS3_iiS8_S4_PS3_21rocsparse_index_base_b,"axG",@progbits,_ZN9rocsparseL22gebsrmvn_mxn_16_kernelILj64ELj16ELj2EfEEvi20rocsparse_direction_NS_24const_host_device_scalarIT2_EEPKiS6_PKS3_iiS8_S4_PS3_21rocsparse_index_base_b,comdat
.Lfunc_end27:
	.size	_ZN9rocsparseL22gebsrmvn_mxn_16_kernelILj64ELj16ELj2EfEEvi20rocsparse_direction_NS_24const_host_device_scalarIT2_EEPKiS6_PKS3_iiS8_S4_PS3_21rocsparse_index_base_b, .Lfunc_end27-_ZN9rocsparseL22gebsrmvn_mxn_16_kernelILj64ELj16ELj2EfEEvi20rocsparse_direction_NS_24const_host_device_scalarIT2_EEPKiS6_PKS3_iiS8_S4_PS3_21rocsparse_index_base_b
                                        ; -- End function
	.set _ZN9rocsparseL22gebsrmvn_mxn_16_kernelILj64ELj16ELj2EfEEvi20rocsparse_direction_NS_24const_host_device_scalarIT2_EEPKiS6_PKS3_iiS8_S4_PS3_21rocsparse_index_base_b.num_vgpr, 9
	.set _ZN9rocsparseL22gebsrmvn_mxn_16_kernelILj64ELj16ELj2EfEEvi20rocsparse_direction_NS_24const_host_device_scalarIT2_EEPKiS6_PKS3_iiS8_S4_PS3_21rocsparse_index_base_b.num_agpr, 0
	.set _ZN9rocsparseL22gebsrmvn_mxn_16_kernelILj64ELj16ELj2EfEEvi20rocsparse_direction_NS_24const_host_device_scalarIT2_EEPKiS6_PKS3_iiS8_S4_PS3_21rocsparse_index_base_b.numbered_sgpr, 20
	.set _ZN9rocsparseL22gebsrmvn_mxn_16_kernelILj64ELj16ELj2EfEEvi20rocsparse_direction_NS_24const_host_device_scalarIT2_EEPKiS6_PKS3_iiS8_S4_PS3_21rocsparse_index_base_b.num_named_barrier, 0
	.set _ZN9rocsparseL22gebsrmvn_mxn_16_kernelILj64ELj16ELj2EfEEvi20rocsparse_direction_NS_24const_host_device_scalarIT2_EEPKiS6_PKS3_iiS8_S4_PS3_21rocsparse_index_base_b.private_seg_size, 0
	.set _ZN9rocsparseL22gebsrmvn_mxn_16_kernelILj64ELj16ELj2EfEEvi20rocsparse_direction_NS_24const_host_device_scalarIT2_EEPKiS6_PKS3_iiS8_S4_PS3_21rocsparse_index_base_b.uses_vcc, 1
	.set _ZN9rocsparseL22gebsrmvn_mxn_16_kernelILj64ELj16ELj2EfEEvi20rocsparse_direction_NS_24const_host_device_scalarIT2_EEPKiS6_PKS3_iiS8_S4_PS3_21rocsparse_index_base_b.uses_flat_scratch, 0
	.set _ZN9rocsparseL22gebsrmvn_mxn_16_kernelILj64ELj16ELj2EfEEvi20rocsparse_direction_NS_24const_host_device_scalarIT2_EEPKiS6_PKS3_iiS8_S4_PS3_21rocsparse_index_base_b.has_dyn_sized_stack, 0
	.set _ZN9rocsparseL22gebsrmvn_mxn_16_kernelILj64ELj16ELj2EfEEvi20rocsparse_direction_NS_24const_host_device_scalarIT2_EEPKiS6_PKS3_iiS8_S4_PS3_21rocsparse_index_base_b.has_recursion, 0
	.set _ZN9rocsparseL22gebsrmvn_mxn_16_kernelILj64ELj16ELj2EfEEvi20rocsparse_direction_NS_24const_host_device_scalarIT2_EEPKiS6_PKS3_iiS8_S4_PS3_21rocsparse_index_base_b.has_indirect_call, 0
	.section	.AMDGPU.csdata,"",@progbits
; Kernel info:
; codeLenInByte = 804
; TotalNumSgprs: 22
; NumVgprs: 9
; ScratchSize: 0
; MemoryBound: 0
; FloatMode: 240
; IeeeMode: 1
; LDSByteSize: 256 bytes/workgroup (compile time only)
; SGPRBlocks: 0
; VGPRBlocks: 0
; NumSGPRsForWavesPerEU: 22
; NumVGPRsForWavesPerEU: 9
; NamedBarCnt: 0
; Occupancy: 16
; WaveLimiterHint : 1
; COMPUTE_PGM_RSRC2:SCRATCH_EN: 0
; COMPUTE_PGM_RSRC2:USER_SGPR: 2
; COMPUTE_PGM_RSRC2:TRAP_HANDLER: 0
; COMPUTE_PGM_RSRC2:TGID_X_EN: 1
; COMPUTE_PGM_RSRC2:TGID_Y_EN: 0
; COMPUTE_PGM_RSRC2:TGID_Z_EN: 0
; COMPUTE_PGM_RSRC2:TIDIG_COMP_CNT: 0
	.section	.text._ZN9rocsparseL22gebsrmvn_mxn_16_kernelILj48ELj16ELj3EfEEvi20rocsparse_direction_NS_24const_host_device_scalarIT2_EEPKiS6_PKS3_iiS8_S4_PS3_21rocsparse_index_base_b,"axG",@progbits,_ZN9rocsparseL22gebsrmvn_mxn_16_kernelILj48ELj16ELj3EfEEvi20rocsparse_direction_NS_24const_host_device_scalarIT2_EEPKiS6_PKS3_iiS8_S4_PS3_21rocsparse_index_base_b,comdat
	.globl	_ZN9rocsparseL22gebsrmvn_mxn_16_kernelILj48ELj16ELj3EfEEvi20rocsparse_direction_NS_24const_host_device_scalarIT2_EEPKiS6_PKS3_iiS8_S4_PS3_21rocsparse_index_base_b ; -- Begin function _ZN9rocsparseL22gebsrmvn_mxn_16_kernelILj48ELj16ELj3EfEEvi20rocsparse_direction_NS_24const_host_device_scalarIT2_EEPKiS6_PKS3_iiS8_S4_PS3_21rocsparse_index_base_b
	.p2align	8
	.type	_ZN9rocsparseL22gebsrmvn_mxn_16_kernelILj48ELj16ELj3EfEEvi20rocsparse_direction_NS_24const_host_device_scalarIT2_EEPKiS6_PKS3_iiS8_S4_PS3_21rocsparse_index_base_b,@function
_ZN9rocsparseL22gebsrmvn_mxn_16_kernelILj48ELj16ELj3EfEEvi20rocsparse_direction_NS_24const_host_device_scalarIT2_EEPKiS6_PKS3_iiS8_S4_PS3_21rocsparse_index_base_b: ; @_ZN9rocsparseL22gebsrmvn_mxn_16_kernelILj48ELj16ELj3EfEEvi20rocsparse_direction_NS_24const_host_device_scalarIT2_EEPKiS6_PKS3_iiS8_S4_PS3_21rocsparse_index_base_b
; %bb.0:
	s_clause 0x2
	s_load_b64 s[14:15], s[0:1], 0x48
	s_load_b64 s[8:9], s[0:1], 0x8
	;; [unrolled: 1-line block ×3, first 2 shown]
	s_wait_kmcnt 0x0
	s_bitcmp1_b32 s15, 0
	s_cselect_b32 s4, -1, 0
	s_delay_alu instid0(SALU_CYCLE_1)
	s_and_b32 vcc_lo, exec_lo, s4
	s_xor_b32 s4, s4, -1
	s_cbranch_vccnz .LBB28_2
; %bb.1:
	s_load_b32 s8, s[8:9], 0x0
.LBB28_2:
	s_and_not1_b32 vcc_lo, exec_lo, s4
	s_cbranch_vccnz .LBB28_4
; %bb.3:
	s_load_b32 s2, s[2:3], 0x0
.LBB28_4:
	s_wait_kmcnt 0x0
	s_cmp_eq_f32 s8, 0
	s_cselect_b32 s3, -1, 0
	s_cmp_eq_f32 s2, 1.0
	s_cselect_b32 s4, -1, 0
	s_delay_alu instid0(SALU_CYCLE_1) | instskip(NEXT) | instid1(SALU_CYCLE_1)
	s_and_b32 s3, s3, s4
	s_and_b32 vcc_lo, exec_lo, s3
	s_cbranch_vccnz .LBB28_30
; %bb.5:
	s_clause 0x1
	s_load_b32 s3, s[0:1], 0x4
	s_load_b64 s[4:5], s[0:1], 0x10
	s_bfe_u32 s6, ttmp6, 0x4000c
	s_and_b32 s7, ttmp6, 15
	s_add_co_i32 s6, s6, 1
	s_getreg_b32 s9, hwreg(HW_REG_IB_STS2, 6, 4)
	s_mul_i32 s6, ttmp9, s6
	v_mul_u32_u24_e32 v1, 0x5556, v0
	s_add_co_i32 s7, s7, s6
	s_cmp_eq_u32 s9, 0
	s_load_b64 s[10:11], s[0:1], 0x40
	s_cselect_b32 s12, ttmp9, s7
	v_lshrrev_b32_e32 v1, 16, v1
	s_delay_alu instid0(VALU_DEP_1) | instskip(SKIP_2) | instid1(VALU_DEP_1)
	v_mul_lo_u16 v1, v1, 3
	s_wait_kmcnt 0x0
	s_cmp_eq_u32 s3, 1
	v_sub_nc_u16 v3, v0, v1
	s_cselect_b32 vcc_lo, -1, 0
	s_cmp_lg_u32 s3, 1
	v_mov_b32_e32 v1, 0
	s_cselect_b32 s3, -1, 0
	s_ashr_i32 s13, s12, 31
	s_delay_alu instid0(SALU_CYCLE_1) | instskip(NEXT) | instid1(SALU_CYCLE_1)
	s_lshl_b64 s[6:7], s[12:13], 2
	s_add_nc_u64 s[4:5], s[4:5], s[6:7]
	s_load_b64 s[18:19], s[4:5], 0x0
	s_wait_kmcnt 0x0
	s_cmp_ge_i32 s18, s19
	s_cbranch_scc1 .LBB28_10
; %bb.6:
	v_lshrrev_b32_e32 v1, 4, v0
	s_clause 0x1
	s_load_b128 s[4:7], s[0:1], 0x18
	s_load_b64 s[16:17], s[0:1], 0x30
	v_mad_u32 v5, s18, 48, v0
	v_and_b32_e32 v4, 0xffff, v0
	v_and_b32_e32 v6, 0xffff, v3
	v_mul_lo_u16 v2, 0x56, v1
	s_wait_xcnt 0x0
	s_mul_i32 s0, s14, 48
	s_sub_co_i32 s1, s18, s14
	s_delay_alu instid0(VALU_DEP_1) | instskip(NEXT) | instid1(VALU_DEP_1)
	v_lshrrev_b16 v2, 8, v2
	v_mul_lo_u16 v2, v2, 3
	s_delay_alu instid0(VALU_DEP_1) | instskip(SKIP_3) | instid1(VALU_DEP_3)
	v_sub_nc_u16 v1, v1, v2
	v_mul_u32_u24_e32 v2, 0x556, v4
	v_subrev_nc_u32_e32 v4, s0, v5
	s_sub_co_i32 s0, s19, s14
	v_and_b32_e32 v1, 0xff, v1
	s_delay_alu instid0(VALU_DEP_1)
	v_dual_cndmask_b32 v5, v6, v1 :: v_dual_lshrrev_b32 v2, 16, v2
	v_mov_b32_e32 v1, 0
	s_branch .LBB28_8
.LBB28_7:                               ;   in Loop: Header=BB28_8 Depth=1
	s_or_b32 exec_lo, exec_lo, s9
	v_add_nc_u32_e32 v4, 48, v4
	s_add_co_i32 s1, s1, 1
	s_delay_alu instid0(SALU_CYCLE_1)
	s_cmp_ge_i32 s1, s0
	s_cbranch_scc1 .LBB28_10
.LBB28_8:                               ; =>This Inner Loop Header: Depth=1
	s_delay_alu instid0(VALU_DEP_2) | instskip(SKIP_1) | instid1(VALU_DEP_1)
	v_add_nc_u32_e32 v6, s1, v2
	s_mov_b32 s9, exec_lo
	v_cmpx_gt_i32_e64 s0, v6
	s_cbranch_execz .LBB28_7
; %bb.9:                                ;   in Loop: Header=BB28_8 Depth=1
	s_wait_kmcnt 0x0
	global_load_b32 v6, v6, s[4:5] scale_offset
	s_wait_loadcnt 0x0
	v_subrev_nc_u32_e32 v6, s14, v6
	s_delay_alu instid0(VALU_DEP_1)
	v_mad_u32 v6, v6, 3, v5
	global_load_b32 v7, v4, s[6:7] scale_offset
	global_load_b32 v8, v6, s[16:17] scale_offset
	s_wait_loadcnt 0x0
	v_fmac_f32_e32 v1, v7, v8
	s_branch .LBB28_7
.LBB28_10:
	v_lshlrev_b32_e32 v2, 2, v0
	s_and_b32 vcc_lo, exec_lo, s3
	ds_store_b32 v2, v1
	s_wait_dscnt 0x0
	s_barrier_signal -1
	s_barrier_wait -1
	s_cbranch_vccz .LBB28_18
; %bb.11:
	v_cmp_eq_u16_e32 vcc_lo, 0, v3
	s_and_saveexec_b32 s0, vcc_lo
	s_cbranch_execz .LBB28_13
; %bb.12:
	ds_load_2addr_b32 v[4:5], v2 offset1:2
	s_wait_dscnt 0x0
	v_add_f32_e32 v3, v5, v4
	ds_store_b32 v2, v3
.LBB28_13:
	s_or_b32 exec_lo, exec_lo, s0
	s_wait_dscnt 0x0
	s_barrier_signal -1
	s_barrier_wait -1
	s_and_saveexec_b32 s0, vcc_lo
	s_cbranch_execz .LBB28_15
; %bb.14:
	ds_load_2addr_b32 v[4:5], v2 offset1:1
	s_wait_dscnt 0x0
	v_add_f32_e32 v3, v5, v4
	ds_store_b32 v2, v3
.LBB28_15:
	s_or_b32 exec_lo, exec_lo, s0
	v_mov_b32_e32 v3, v1
	s_mov_b32 s0, exec_lo
	s_wait_dscnt 0x0
	s_barrier_signal -1
	s_barrier_wait -1
	v_cmpx_gt_u32_e32 16, v0
; %bb.16:
	v_lshl_add_u32 v3, v0, 3, v2
	ds_load_b32 v3, v3
; %bb.17:
	s_or_b32 exec_lo, exec_lo, s0
	v_cmp_gt_u32_e64 s0, 16, v0
	s_branch .LBB28_26
.LBB28_18:
                                        ; implicit-def: $vgpr3
	v_cmp_gt_u32_e64 s0, 16, v0
	s_cbranch_execz .LBB28_26
; %bb.19:
	v_cmp_lt_u32_e32 vcc_lo, 15, v0
	s_and_saveexec_b32 s1, s0
	s_cbranch_execz .LBB28_21
; %bb.20:
	ds_load_2addr_b32 v[4:5], v2 offset1:32
	s_wait_dscnt 0x0
	v_add_f32_e32 v3, v5, v4
	ds_store_b32 v2, v3
.LBB28_21:
	s_or_b32 exec_lo, exec_lo, s1
	s_wait_dscnt 0x0
	s_barrier_signal -1
	s_barrier_wait -1
	s_and_saveexec_b32 s0, vcc_lo
	s_delay_alu instid0(SALU_CYCLE_1)
	s_xor_b32 s0, exec_lo, s0
; %bb.22:
                                        ; implicit-def: $vgpr2
; %bb.23:
	s_delay_alu instid0(SALU_CYCLE_1)
	s_and_not1_saveexec_b32 s0, s0
	s_cbranch_execz .LBB28_25
; %bb.24:
	ds_load_2addr_b32 v[4:5], v2 offset1:16
	s_wait_dscnt 0x0
	v_add_f32_e32 v1, v5, v4
	ds_store_b32 v2, v1
	s_wait_dscnt 0x0
	ds_load_b32 v1, v2
.LBB28_25:
	s_or_b32 exec_lo, exec_lo, s0
	s_wait_dscnt 0x0
	v_mov_b32_e32 v3, v1
.LBB28_26:
	s_mov_b32 s0, exec_lo
	v_cmpx_gt_u32_e32 16, v0
	s_cbranch_execz .LBB28_30
; %bb.27:
	s_wait_dscnt 0x0
	v_mul_f32_e32 v1, s8, v3
	v_lshl_or_b32 v0, s12, 4, v0
	s_cmp_eq_f32 s2, 0
	s_mov_b32 s0, 0
	s_cbranch_scc0 .LBB28_31
; %bb.28:
	global_store_b32 v0, v1, s[10:11] scale_offset
	s_and_not1_b32 vcc_lo, exec_lo, s0
	s_cbranch_vccnz .LBB28_30
.LBB28_29:
	global_load_b32 v2, v0, s[10:11] scale_offset
	s_wait_loadcnt 0x0
	s_wait_xcnt 0x1
	v_fmac_f32_e32 v1, s2, v2
	global_store_b32 v0, v1, s[10:11] scale_offset
.LBB28_30:
	s_endpgm
.LBB28_31:
	s_branch .LBB28_29
	.section	.rodata,"a",@progbits
	.p2align	6, 0x0
	.amdhsa_kernel _ZN9rocsparseL22gebsrmvn_mxn_16_kernelILj48ELj16ELj3EfEEvi20rocsparse_direction_NS_24const_host_device_scalarIT2_EEPKiS6_PKS3_iiS8_S4_PS3_21rocsparse_index_base_b
		.amdhsa_group_segment_fixed_size 192
		.amdhsa_private_segment_fixed_size 0
		.amdhsa_kernarg_size 80
		.amdhsa_user_sgpr_count 2
		.amdhsa_user_sgpr_dispatch_ptr 0
		.amdhsa_user_sgpr_queue_ptr 0
		.amdhsa_user_sgpr_kernarg_segment_ptr 1
		.amdhsa_user_sgpr_dispatch_id 0
		.amdhsa_user_sgpr_kernarg_preload_length 0
		.amdhsa_user_sgpr_kernarg_preload_offset 0
		.amdhsa_user_sgpr_private_segment_size 0
		.amdhsa_wavefront_size32 1
		.amdhsa_uses_dynamic_stack 0
		.amdhsa_enable_private_segment 0
		.amdhsa_system_sgpr_workgroup_id_x 1
		.amdhsa_system_sgpr_workgroup_id_y 0
		.amdhsa_system_sgpr_workgroup_id_z 0
		.amdhsa_system_sgpr_workgroup_info 0
		.amdhsa_system_vgpr_workitem_id 0
		.amdhsa_next_free_vgpr 9
		.amdhsa_next_free_sgpr 20
		.amdhsa_named_barrier_count 0
		.amdhsa_reserve_vcc 1
		.amdhsa_float_round_mode_32 0
		.amdhsa_float_round_mode_16_64 0
		.amdhsa_float_denorm_mode_32 3
		.amdhsa_float_denorm_mode_16_64 3
		.amdhsa_fp16_overflow 0
		.amdhsa_memory_ordered 1
		.amdhsa_forward_progress 1
		.amdhsa_inst_pref_size 8
		.amdhsa_round_robin_scheduling 0
		.amdhsa_exception_fp_ieee_invalid_op 0
		.amdhsa_exception_fp_denorm_src 0
		.amdhsa_exception_fp_ieee_div_zero 0
		.amdhsa_exception_fp_ieee_overflow 0
		.amdhsa_exception_fp_ieee_underflow 0
		.amdhsa_exception_fp_ieee_inexact 0
		.amdhsa_exception_int_div_zero 0
	.end_amdhsa_kernel
	.section	.text._ZN9rocsparseL22gebsrmvn_mxn_16_kernelILj48ELj16ELj3EfEEvi20rocsparse_direction_NS_24const_host_device_scalarIT2_EEPKiS6_PKS3_iiS8_S4_PS3_21rocsparse_index_base_b,"axG",@progbits,_ZN9rocsparseL22gebsrmvn_mxn_16_kernelILj48ELj16ELj3EfEEvi20rocsparse_direction_NS_24const_host_device_scalarIT2_EEPKiS6_PKS3_iiS8_S4_PS3_21rocsparse_index_base_b,comdat
.Lfunc_end28:
	.size	_ZN9rocsparseL22gebsrmvn_mxn_16_kernelILj48ELj16ELj3EfEEvi20rocsparse_direction_NS_24const_host_device_scalarIT2_EEPKiS6_PKS3_iiS8_S4_PS3_21rocsparse_index_base_b, .Lfunc_end28-_ZN9rocsparseL22gebsrmvn_mxn_16_kernelILj48ELj16ELj3EfEEvi20rocsparse_direction_NS_24const_host_device_scalarIT2_EEPKiS6_PKS3_iiS8_S4_PS3_21rocsparse_index_base_b
                                        ; -- End function
	.set _ZN9rocsparseL22gebsrmvn_mxn_16_kernelILj48ELj16ELj3EfEEvi20rocsparse_direction_NS_24const_host_device_scalarIT2_EEPKiS6_PKS3_iiS8_S4_PS3_21rocsparse_index_base_b.num_vgpr, 9
	.set _ZN9rocsparseL22gebsrmvn_mxn_16_kernelILj48ELj16ELj3EfEEvi20rocsparse_direction_NS_24const_host_device_scalarIT2_EEPKiS6_PKS3_iiS8_S4_PS3_21rocsparse_index_base_b.num_agpr, 0
	.set _ZN9rocsparseL22gebsrmvn_mxn_16_kernelILj48ELj16ELj3EfEEvi20rocsparse_direction_NS_24const_host_device_scalarIT2_EEPKiS6_PKS3_iiS8_S4_PS3_21rocsparse_index_base_b.numbered_sgpr, 20
	.set _ZN9rocsparseL22gebsrmvn_mxn_16_kernelILj48ELj16ELj3EfEEvi20rocsparse_direction_NS_24const_host_device_scalarIT2_EEPKiS6_PKS3_iiS8_S4_PS3_21rocsparse_index_base_b.num_named_barrier, 0
	.set _ZN9rocsparseL22gebsrmvn_mxn_16_kernelILj48ELj16ELj3EfEEvi20rocsparse_direction_NS_24const_host_device_scalarIT2_EEPKiS6_PKS3_iiS8_S4_PS3_21rocsparse_index_base_b.private_seg_size, 0
	.set _ZN9rocsparseL22gebsrmvn_mxn_16_kernelILj48ELj16ELj3EfEEvi20rocsparse_direction_NS_24const_host_device_scalarIT2_EEPKiS6_PKS3_iiS8_S4_PS3_21rocsparse_index_base_b.uses_vcc, 1
	.set _ZN9rocsparseL22gebsrmvn_mxn_16_kernelILj48ELj16ELj3EfEEvi20rocsparse_direction_NS_24const_host_device_scalarIT2_EEPKiS6_PKS3_iiS8_S4_PS3_21rocsparse_index_base_b.uses_flat_scratch, 0
	.set _ZN9rocsparseL22gebsrmvn_mxn_16_kernelILj48ELj16ELj3EfEEvi20rocsparse_direction_NS_24const_host_device_scalarIT2_EEPKiS6_PKS3_iiS8_S4_PS3_21rocsparse_index_base_b.has_dyn_sized_stack, 0
	.set _ZN9rocsparseL22gebsrmvn_mxn_16_kernelILj48ELj16ELj3EfEEvi20rocsparse_direction_NS_24const_host_device_scalarIT2_EEPKiS6_PKS3_iiS8_S4_PS3_21rocsparse_index_base_b.has_recursion, 0
	.set _ZN9rocsparseL22gebsrmvn_mxn_16_kernelILj48ELj16ELj3EfEEvi20rocsparse_direction_NS_24const_host_device_scalarIT2_EEPKiS6_PKS3_iiS8_S4_PS3_21rocsparse_index_base_b.has_indirect_call, 0
	.section	.AMDGPU.csdata,"",@progbits
; Kernel info:
; codeLenInByte = 956
; TotalNumSgprs: 22
; NumVgprs: 9
; ScratchSize: 0
; MemoryBound: 0
; FloatMode: 240
; IeeeMode: 1
; LDSByteSize: 192 bytes/workgroup (compile time only)
; SGPRBlocks: 0
; VGPRBlocks: 0
; NumSGPRsForWavesPerEU: 22
; NumVGPRsForWavesPerEU: 9
; NamedBarCnt: 0
; Occupancy: 16
; WaveLimiterHint : 1
; COMPUTE_PGM_RSRC2:SCRATCH_EN: 0
; COMPUTE_PGM_RSRC2:USER_SGPR: 2
; COMPUTE_PGM_RSRC2:TRAP_HANDLER: 0
; COMPUTE_PGM_RSRC2:TGID_X_EN: 1
; COMPUTE_PGM_RSRC2:TGID_Y_EN: 0
; COMPUTE_PGM_RSRC2:TGID_Z_EN: 0
; COMPUTE_PGM_RSRC2:TIDIG_COMP_CNT: 0
	.section	.text._ZN9rocsparseL22gebsrmvn_mxn_16_kernelILj64ELj16ELj4EfEEvi20rocsparse_direction_NS_24const_host_device_scalarIT2_EEPKiS6_PKS3_iiS8_S4_PS3_21rocsparse_index_base_b,"axG",@progbits,_ZN9rocsparseL22gebsrmvn_mxn_16_kernelILj64ELj16ELj4EfEEvi20rocsparse_direction_NS_24const_host_device_scalarIT2_EEPKiS6_PKS3_iiS8_S4_PS3_21rocsparse_index_base_b,comdat
	.globl	_ZN9rocsparseL22gebsrmvn_mxn_16_kernelILj64ELj16ELj4EfEEvi20rocsparse_direction_NS_24const_host_device_scalarIT2_EEPKiS6_PKS3_iiS8_S4_PS3_21rocsparse_index_base_b ; -- Begin function _ZN9rocsparseL22gebsrmvn_mxn_16_kernelILj64ELj16ELj4EfEEvi20rocsparse_direction_NS_24const_host_device_scalarIT2_EEPKiS6_PKS3_iiS8_S4_PS3_21rocsparse_index_base_b
	.p2align	8
	.type	_ZN9rocsparseL22gebsrmvn_mxn_16_kernelILj64ELj16ELj4EfEEvi20rocsparse_direction_NS_24const_host_device_scalarIT2_EEPKiS6_PKS3_iiS8_S4_PS3_21rocsparse_index_base_b,@function
_ZN9rocsparseL22gebsrmvn_mxn_16_kernelILj64ELj16ELj4EfEEvi20rocsparse_direction_NS_24const_host_device_scalarIT2_EEPKiS6_PKS3_iiS8_S4_PS3_21rocsparse_index_base_b: ; @_ZN9rocsparseL22gebsrmvn_mxn_16_kernelILj64ELj16ELj4EfEEvi20rocsparse_direction_NS_24const_host_device_scalarIT2_EEPKiS6_PKS3_iiS8_S4_PS3_21rocsparse_index_base_b
; %bb.0:
	s_clause 0x2
	s_load_b64 s[14:15], s[0:1], 0x48
	s_load_b64 s[8:9], s[0:1], 0x8
	;; [unrolled: 1-line block ×3, first 2 shown]
	s_wait_kmcnt 0x0
	s_bitcmp1_b32 s15, 0
	s_cselect_b32 s4, -1, 0
	s_delay_alu instid0(SALU_CYCLE_1)
	s_and_b32 vcc_lo, exec_lo, s4
	s_xor_b32 s4, s4, -1
	s_cbranch_vccnz .LBB29_2
; %bb.1:
	s_load_b32 s8, s[8:9], 0x0
.LBB29_2:
	s_and_not1_b32 vcc_lo, exec_lo, s4
	s_cbranch_vccnz .LBB29_4
; %bb.3:
	s_load_b32 s2, s[2:3], 0x0
.LBB29_4:
	s_wait_kmcnt 0x0
	s_cmp_eq_f32 s8, 0
	s_cselect_b32 s3, -1, 0
	s_cmp_eq_f32 s2, 1.0
	s_cselect_b32 s4, -1, 0
	s_delay_alu instid0(SALU_CYCLE_1) | instskip(NEXT) | instid1(SALU_CYCLE_1)
	s_and_b32 s3, s3, s4
	s_and_b32 vcc_lo, exec_lo, s3
	s_cbranch_vccnz .LBB29_30
; %bb.5:
	s_clause 0x1
	s_load_b32 s3, s[0:1], 0x4
	s_load_b64 s[4:5], s[0:1], 0x10
	s_bfe_u32 s6, ttmp6, 0x4000c
	s_and_b32 s7, ttmp6, 15
	s_add_co_i32 s6, s6, 1
	s_getreg_b32 s9, hwreg(HW_REG_IB_STS2, 6, 4)
	s_mul_i32 s6, ttmp9, s6
	v_dual_mov_b32 v1, 0 :: v_dual_bitop2_b32 v3, 3, v0 bitop3:0x40
	s_add_co_i32 s7, s7, s6
	s_cmp_eq_u32 s9, 0
	s_cselect_b32 s12, ttmp9, s7
	s_wait_kmcnt 0x0
	s_cmp_eq_u32 s3, 1
	s_cselect_b32 vcc_lo, -1, 0
	s_cmp_lg_u32 s3, 1
	s_cselect_b32 s3, -1, 0
	s_ashr_i32 s13, s12, 31
	s_delay_alu instid0(SALU_CYCLE_1) | instskip(NEXT) | instid1(SALU_CYCLE_1)
	s_lshl_b64 s[6:7], s[12:13], 2
	s_add_nc_u64 s[4:5], s[4:5], s[6:7]
	s_load_b64 s[18:19], s[4:5], 0x0
	s_load_b64 s[10:11], s[0:1], 0x40
	s_wait_kmcnt 0x0
	s_cmp_ge_i32 s18, s19
	s_cbranch_scc1 .LBB29_10
; %bb.6:
	s_clause 0x1
	s_load_b128 s[4:7], s[0:1], 0x18
	s_load_b64 s[16:17], s[0:1], 0x30
	v_lshrrev_b32_e32 v1, 4, v0
	v_lshl_or_b32 v4, s18, 6, v0
	s_wait_xcnt 0x0
	s_lshl_b32 s0, s14, 6
	s_sub_co_i32 s1, s18, s14
	v_dual_cndmask_b32 v2, v3, v1 :: v_dual_mov_b32 v1, 0
	v_subrev_nc_u32_e32 v4, s0, v4
	s_sub_co_i32 s0, s19, s14
	s_branch .LBB29_8
.LBB29_7:                               ;   in Loop: Header=BB29_8 Depth=1
	s_or_b32 exec_lo, exec_lo, s9
	v_add_nc_u32_e32 v4, 64, v4
	s_add_co_i32 s1, s1, 1
	s_delay_alu instid0(SALU_CYCLE_1)
	s_cmp_ge_i32 s1, s0
	s_cbranch_scc1 .LBB29_10
.LBB29_8:                               ; =>This Inner Loop Header: Depth=1
	s_cmp_lt_i32 s1, s0
	s_cselect_b32 s13, -1, 0
	s_delay_alu instid0(SALU_CYCLE_1)
	s_and_saveexec_b32 s9, s13
	s_cbranch_execz .LBB29_7
; %bb.9:                                ;   in Loop: Header=BB29_8 Depth=1
	v_mov_b32_e32 v5, s1
	s_wait_kmcnt 0x0
	global_load_b32 v5, v5, s[4:5] scale_offset
	s_wait_loadcnt 0x0
	v_subrev_nc_u32_e32 v5, s14, v5
	s_delay_alu instid0(VALU_DEP_1)
	v_lshl_or_b32 v5, v5, 2, v2
	global_load_b32 v6, v4, s[6:7] scale_offset
	global_load_b32 v7, v5, s[16:17] scale_offset
	s_wait_loadcnt 0x0
	v_fmac_f32_e32 v1, v6, v7
	s_branch .LBB29_7
.LBB29_10:
	v_lshlrev_b32_e32 v2, 2, v0
	s_and_b32 vcc_lo, exec_lo, s3
	ds_store_b32 v2, v1
	s_wait_dscnt 0x0
	s_barrier_signal -1
	s_barrier_wait -1
	s_cbranch_vccz .LBB29_18
; %bb.11:
	s_mov_b32 s0, exec_lo
	v_cmpx_gt_u32_e32 2, v3
	s_cbranch_execz .LBB29_13
; %bb.12:
	ds_load_2addr_b32 v[4:5], v2 offset1:2
	s_wait_dscnt 0x0
	v_add_f32_e32 v4, v5, v4
	ds_store_b32 v2, v4
.LBB29_13:
	s_or_b32 exec_lo, exec_lo, s0
	s_delay_alu instid0(SALU_CYCLE_1)
	s_mov_b32 s0, exec_lo
	s_wait_dscnt 0x0
	s_barrier_signal -1
	s_barrier_wait -1
	v_cmpx_eq_u32_e32 0, v3
	s_cbranch_execz .LBB29_15
; %bb.14:
	ds_load_2addr_b32 v[4:5], v2 offset1:1
	s_wait_dscnt 0x0
	v_add_f32_e32 v3, v5, v4
	ds_store_b32 v2, v3
.LBB29_15:
	s_or_b32 exec_lo, exec_lo, s0
	v_mov_b32_e32 v3, v1
	s_mov_b32 s0, exec_lo
	s_wait_dscnt 0x0
	s_barrier_signal -1
	s_barrier_wait -1
	v_cmpx_gt_u32_e32 16, v0
; %bb.16:
	v_mad_u32_u24 v3, v0, 12, v2
	ds_load_b32 v3, v3
; %bb.17:
	s_or_b32 exec_lo, exec_lo, s0
	s_branch .LBB29_26
.LBB29_18:
                                        ; implicit-def: $vgpr3
	s_cbranch_execz .LBB29_26
; %bb.19:
	s_mov_b32 s0, exec_lo
	v_cmpx_gt_u32_e32 32, v0
	s_cbranch_execz .LBB29_21
; %bb.20:
	ds_load_2addr_b32 v[4:5], v2 offset1:32
	s_wait_dscnt 0x0
	v_add_f32_e32 v3, v5, v4
	ds_store_b32 v2, v3
.LBB29_21:
	s_or_b32 exec_lo, exec_lo, s0
	s_delay_alu instid0(SALU_CYCLE_1)
	s_mov_b32 s0, exec_lo
	s_wait_dscnt 0x0
	v_cmpx_lt_u32_e32 15, v0
	s_xor_b32 s0, exec_lo, s0
; %bb.22:
                                        ; implicit-def: $vgpr2
; %bb.23:
	s_delay_alu instid0(SALU_CYCLE_1)
	s_and_not1_saveexec_b32 s0, s0
	s_cbranch_execz .LBB29_25
; %bb.24:
	ds_load_2addr_b32 v[4:5], v2 offset1:16
	s_wait_dscnt 0x0
	v_add_f32_e32 v1, v5, v4
	ds_store_b32 v2, v1
	s_wait_dscnt 0x0
	ds_load_b32 v1, v2
.LBB29_25:
	s_or_b32 exec_lo, exec_lo, s0
	s_wait_dscnt 0x0
	v_mov_b32_e32 v3, v1
.LBB29_26:
	s_mov_b32 s0, exec_lo
	v_cmpx_gt_u32_e32 16, v0
	s_cbranch_execz .LBB29_30
; %bb.27:
	s_wait_dscnt 0x0
	v_mul_f32_e32 v1, s8, v3
	v_lshl_or_b32 v0, s12, 4, v0
	s_cmp_eq_f32 s2, 0
	s_mov_b32 s0, 0
	s_cbranch_scc0 .LBB29_31
; %bb.28:
	global_store_b32 v0, v1, s[10:11] scale_offset
	s_and_not1_b32 vcc_lo, exec_lo, s0
	s_cbranch_vccnz .LBB29_30
.LBB29_29:
	global_load_b32 v2, v0, s[10:11] scale_offset
	s_wait_loadcnt 0x0
	s_wait_xcnt 0x1
	v_fmac_f32_e32 v1, s2, v2
	global_store_b32 v0, v1, s[10:11] scale_offset
.LBB29_30:
	s_endpgm
.LBB29_31:
	s_branch .LBB29_29
	.section	.rodata,"a",@progbits
	.p2align	6, 0x0
	.amdhsa_kernel _ZN9rocsparseL22gebsrmvn_mxn_16_kernelILj64ELj16ELj4EfEEvi20rocsparse_direction_NS_24const_host_device_scalarIT2_EEPKiS6_PKS3_iiS8_S4_PS3_21rocsparse_index_base_b
		.amdhsa_group_segment_fixed_size 256
		.amdhsa_private_segment_fixed_size 0
		.amdhsa_kernarg_size 80
		.amdhsa_user_sgpr_count 2
		.amdhsa_user_sgpr_dispatch_ptr 0
		.amdhsa_user_sgpr_queue_ptr 0
		.amdhsa_user_sgpr_kernarg_segment_ptr 1
		.amdhsa_user_sgpr_dispatch_id 0
		.amdhsa_user_sgpr_kernarg_preload_length 0
		.amdhsa_user_sgpr_kernarg_preload_offset 0
		.amdhsa_user_sgpr_private_segment_size 0
		.amdhsa_wavefront_size32 1
		.amdhsa_uses_dynamic_stack 0
		.amdhsa_enable_private_segment 0
		.amdhsa_system_sgpr_workgroup_id_x 1
		.amdhsa_system_sgpr_workgroup_id_y 0
		.amdhsa_system_sgpr_workgroup_id_z 0
		.amdhsa_system_sgpr_workgroup_info 0
		.amdhsa_system_vgpr_workitem_id 0
		.amdhsa_next_free_vgpr 8
		.amdhsa_next_free_sgpr 20
		.amdhsa_named_barrier_count 0
		.amdhsa_reserve_vcc 1
		.amdhsa_float_round_mode_32 0
		.amdhsa_float_round_mode_16_64 0
		.amdhsa_float_denorm_mode_32 3
		.amdhsa_float_denorm_mode_16_64 3
		.amdhsa_fp16_overflow 0
		.amdhsa_memory_ordered 1
		.amdhsa_forward_progress 1
		.amdhsa_inst_pref_size 7
		.amdhsa_round_robin_scheduling 0
		.amdhsa_exception_fp_ieee_invalid_op 0
		.amdhsa_exception_fp_denorm_src 0
		.amdhsa_exception_fp_ieee_div_zero 0
		.amdhsa_exception_fp_ieee_overflow 0
		.amdhsa_exception_fp_ieee_underflow 0
		.amdhsa_exception_fp_ieee_inexact 0
		.amdhsa_exception_int_div_zero 0
	.end_amdhsa_kernel
	.section	.text._ZN9rocsparseL22gebsrmvn_mxn_16_kernelILj64ELj16ELj4EfEEvi20rocsparse_direction_NS_24const_host_device_scalarIT2_EEPKiS6_PKS3_iiS8_S4_PS3_21rocsparse_index_base_b,"axG",@progbits,_ZN9rocsparseL22gebsrmvn_mxn_16_kernelILj64ELj16ELj4EfEEvi20rocsparse_direction_NS_24const_host_device_scalarIT2_EEPKiS6_PKS3_iiS8_S4_PS3_21rocsparse_index_base_b,comdat
.Lfunc_end29:
	.size	_ZN9rocsparseL22gebsrmvn_mxn_16_kernelILj64ELj16ELj4EfEEvi20rocsparse_direction_NS_24const_host_device_scalarIT2_EEPKiS6_PKS3_iiS8_S4_PS3_21rocsparse_index_base_b, .Lfunc_end29-_ZN9rocsparseL22gebsrmvn_mxn_16_kernelILj64ELj16ELj4EfEEvi20rocsparse_direction_NS_24const_host_device_scalarIT2_EEPKiS6_PKS3_iiS8_S4_PS3_21rocsparse_index_base_b
                                        ; -- End function
	.set _ZN9rocsparseL22gebsrmvn_mxn_16_kernelILj64ELj16ELj4EfEEvi20rocsparse_direction_NS_24const_host_device_scalarIT2_EEPKiS6_PKS3_iiS8_S4_PS3_21rocsparse_index_base_b.num_vgpr, 8
	.set _ZN9rocsparseL22gebsrmvn_mxn_16_kernelILj64ELj16ELj4EfEEvi20rocsparse_direction_NS_24const_host_device_scalarIT2_EEPKiS6_PKS3_iiS8_S4_PS3_21rocsparse_index_base_b.num_agpr, 0
	.set _ZN9rocsparseL22gebsrmvn_mxn_16_kernelILj64ELj16ELj4EfEEvi20rocsparse_direction_NS_24const_host_device_scalarIT2_EEPKiS6_PKS3_iiS8_S4_PS3_21rocsparse_index_base_b.numbered_sgpr, 20
	.set _ZN9rocsparseL22gebsrmvn_mxn_16_kernelILj64ELj16ELj4EfEEvi20rocsparse_direction_NS_24const_host_device_scalarIT2_EEPKiS6_PKS3_iiS8_S4_PS3_21rocsparse_index_base_b.num_named_barrier, 0
	.set _ZN9rocsparseL22gebsrmvn_mxn_16_kernelILj64ELj16ELj4EfEEvi20rocsparse_direction_NS_24const_host_device_scalarIT2_EEPKiS6_PKS3_iiS8_S4_PS3_21rocsparse_index_base_b.private_seg_size, 0
	.set _ZN9rocsparseL22gebsrmvn_mxn_16_kernelILj64ELj16ELj4EfEEvi20rocsparse_direction_NS_24const_host_device_scalarIT2_EEPKiS6_PKS3_iiS8_S4_PS3_21rocsparse_index_base_b.uses_vcc, 1
	.set _ZN9rocsparseL22gebsrmvn_mxn_16_kernelILj64ELj16ELj4EfEEvi20rocsparse_direction_NS_24const_host_device_scalarIT2_EEPKiS6_PKS3_iiS8_S4_PS3_21rocsparse_index_base_b.uses_flat_scratch, 0
	.set _ZN9rocsparseL22gebsrmvn_mxn_16_kernelILj64ELj16ELj4EfEEvi20rocsparse_direction_NS_24const_host_device_scalarIT2_EEPKiS6_PKS3_iiS8_S4_PS3_21rocsparse_index_base_b.has_dyn_sized_stack, 0
	.set _ZN9rocsparseL22gebsrmvn_mxn_16_kernelILj64ELj16ELj4EfEEvi20rocsparse_direction_NS_24const_host_device_scalarIT2_EEPKiS6_PKS3_iiS8_S4_PS3_21rocsparse_index_base_b.has_recursion, 0
	.set _ZN9rocsparseL22gebsrmvn_mxn_16_kernelILj64ELj16ELj4EfEEvi20rocsparse_direction_NS_24const_host_device_scalarIT2_EEPKiS6_PKS3_iiS8_S4_PS3_21rocsparse_index_base_b.has_indirect_call, 0
	.section	.AMDGPU.csdata,"",@progbits
; Kernel info:
; codeLenInByte = 836
; TotalNumSgprs: 22
; NumVgprs: 8
; ScratchSize: 0
; MemoryBound: 0
; FloatMode: 240
; IeeeMode: 1
; LDSByteSize: 256 bytes/workgroup (compile time only)
; SGPRBlocks: 0
; VGPRBlocks: 0
; NumSGPRsForWavesPerEU: 22
; NumVGPRsForWavesPerEU: 8
; NamedBarCnt: 0
; Occupancy: 16
; WaveLimiterHint : 1
; COMPUTE_PGM_RSRC2:SCRATCH_EN: 0
; COMPUTE_PGM_RSRC2:USER_SGPR: 2
; COMPUTE_PGM_RSRC2:TRAP_HANDLER: 0
; COMPUTE_PGM_RSRC2:TGID_X_EN: 1
; COMPUTE_PGM_RSRC2:TGID_Y_EN: 0
; COMPUTE_PGM_RSRC2:TGID_Z_EN: 0
; COMPUTE_PGM_RSRC2:TIDIG_COMP_CNT: 0
	.section	.text._ZN9rocsparseL22gebsrmvn_mxn_16_kernelILj80ELj16ELj5EfEEvi20rocsparse_direction_NS_24const_host_device_scalarIT2_EEPKiS6_PKS3_iiS8_S4_PS3_21rocsparse_index_base_b,"axG",@progbits,_ZN9rocsparseL22gebsrmvn_mxn_16_kernelILj80ELj16ELj5EfEEvi20rocsparse_direction_NS_24const_host_device_scalarIT2_EEPKiS6_PKS3_iiS8_S4_PS3_21rocsparse_index_base_b,comdat
	.globl	_ZN9rocsparseL22gebsrmvn_mxn_16_kernelILj80ELj16ELj5EfEEvi20rocsparse_direction_NS_24const_host_device_scalarIT2_EEPKiS6_PKS3_iiS8_S4_PS3_21rocsparse_index_base_b ; -- Begin function _ZN9rocsparseL22gebsrmvn_mxn_16_kernelILj80ELj16ELj5EfEEvi20rocsparse_direction_NS_24const_host_device_scalarIT2_EEPKiS6_PKS3_iiS8_S4_PS3_21rocsparse_index_base_b
	.p2align	8
	.type	_ZN9rocsparseL22gebsrmvn_mxn_16_kernelILj80ELj16ELj5EfEEvi20rocsparse_direction_NS_24const_host_device_scalarIT2_EEPKiS6_PKS3_iiS8_S4_PS3_21rocsparse_index_base_b,@function
_ZN9rocsparseL22gebsrmvn_mxn_16_kernelILj80ELj16ELj5EfEEvi20rocsparse_direction_NS_24const_host_device_scalarIT2_EEPKiS6_PKS3_iiS8_S4_PS3_21rocsparse_index_base_b: ; @_ZN9rocsparseL22gebsrmvn_mxn_16_kernelILj80ELj16ELj5EfEEvi20rocsparse_direction_NS_24const_host_device_scalarIT2_EEPKiS6_PKS3_iiS8_S4_PS3_21rocsparse_index_base_b
; %bb.0:
	s_clause 0x2
	s_load_b64 s[14:15], s[0:1], 0x48
	s_load_b64 s[8:9], s[0:1], 0x8
	;; [unrolled: 1-line block ×3, first 2 shown]
	s_wait_kmcnt 0x0
	s_bitcmp1_b32 s15, 0
	s_cselect_b32 s4, -1, 0
	s_delay_alu instid0(SALU_CYCLE_1)
	s_and_b32 vcc_lo, exec_lo, s4
	s_xor_b32 s4, s4, -1
	s_cbranch_vccnz .LBB30_2
; %bb.1:
	s_load_b32 s8, s[8:9], 0x0
.LBB30_2:
	s_and_not1_b32 vcc_lo, exec_lo, s4
	s_cbranch_vccnz .LBB30_4
; %bb.3:
	s_load_b32 s2, s[2:3], 0x0
.LBB30_4:
	s_wait_kmcnt 0x0
	s_cmp_eq_f32 s8, 0
	s_cselect_b32 s3, -1, 0
	s_cmp_eq_f32 s2, 1.0
	s_cselect_b32 s4, -1, 0
	s_delay_alu instid0(SALU_CYCLE_1) | instskip(NEXT) | instid1(SALU_CYCLE_1)
	s_and_b32 s3, s3, s4
	s_and_b32 vcc_lo, exec_lo, s3
	s_cbranch_vccnz .LBB30_34
; %bb.5:
	s_clause 0x1
	s_load_b32 s3, s[0:1], 0x4
	s_load_b64 s[4:5], s[0:1], 0x10
	s_bfe_u32 s6, ttmp6, 0x4000c
	s_and_b32 s7, ttmp6, 15
	s_add_co_i32 s6, s6, 1
	s_getreg_b32 s9, hwreg(HW_REG_IB_STS2, 6, 4)
	s_mul_i32 s6, ttmp9, s6
	v_mul_u32_u24_e32 v1, 0x3334, v0
	s_add_co_i32 s7, s7, s6
	s_cmp_eq_u32 s9, 0
	s_load_b64 s[10:11], s[0:1], 0x40
	s_cselect_b32 s12, ttmp9, s7
	v_lshrrev_b32_e32 v1, 16, v1
	s_delay_alu instid0(VALU_DEP_1) | instskip(SKIP_2) | instid1(VALU_DEP_1)
	v_mul_lo_u16 v1, v1, 5
	s_wait_kmcnt 0x0
	s_cmp_eq_u32 s3, 1
	v_sub_nc_u16 v3, v0, v1
	s_cselect_b32 vcc_lo, -1, 0
	s_cmp_lg_u32 s3, 1
	v_mov_b32_e32 v1, 0
	s_cselect_b32 s3, -1, 0
	s_ashr_i32 s13, s12, 31
	s_delay_alu instid0(SALU_CYCLE_1) | instskip(NEXT) | instid1(SALU_CYCLE_1)
	s_lshl_b64 s[6:7], s[12:13], 2
	s_add_nc_u64 s[4:5], s[4:5], s[6:7]
	s_load_b64 s[18:19], s[4:5], 0x0
	s_wait_kmcnt 0x0
	s_cmp_ge_i32 s18, s19
	s_cbranch_scc1 .LBB30_10
; %bb.6:
	v_lshrrev_b32_e32 v1, 4, v0
	s_clause 0x1
	s_load_b128 s[4:7], s[0:1], 0x18
	s_load_b64 s[16:17], s[0:1], 0x30
	v_mad_u32 v5, 0x50, s18, v0
	v_and_b32_e32 v4, 0xffff, v0
	v_and_b32_e32 v6, 0xffff, v3
	v_mul_lo_u16 v2, v1, 52
	s_wait_xcnt 0x0
	s_mul_i32 s0, s14, 0x50
	s_sub_co_i32 s1, s18, s14
	s_delay_alu instid0(VALU_DEP_1) | instskip(NEXT) | instid1(VALU_DEP_1)
	v_lshrrev_b16 v2, 8, v2
	v_mul_lo_u16 v2, v2, 5
	s_delay_alu instid0(VALU_DEP_1) | instskip(SKIP_3) | instid1(VALU_DEP_3)
	v_sub_nc_u16 v1, v1, v2
	v_mul_u32_u24_e32 v2, 0x334, v4
	v_subrev_nc_u32_e32 v4, s0, v5
	s_sub_co_i32 s0, s19, s14
	v_and_b32_e32 v1, 0xff, v1
	s_delay_alu instid0(VALU_DEP_1)
	v_dual_cndmask_b32 v5, v6, v1 :: v_dual_lshrrev_b32 v2, 16, v2
	v_mov_b32_e32 v1, 0
	s_branch .LBB30_8
.LBB30_7:                               ;   in Loop: Header=BB30_8 Depth=1
	s_or_b32 exec_lo, exec_lo, s9
	v_add_nc_u32_e32 v4, 0x50, v4
	s_add_co_i32 s1, s1, 1
	s_delay_alu instid0(SALU_CYCLE_1)
	s_cmp_ge_i32 s1, s0
	s_cbranch_scc1 .LBB30_10
.LBB30_8:                               ; =>This Inner Loop Header: Depth=1
	s_delay_alu instid0(VALU_DEP_2) | instskip(SKIP_1) | instid1(VALU_DEP_1)
	v_add_nc_u32_e32 v6, s1, v2
	s_mov_b32 s9, exec_lo
	v_cmpx_gt_i32_e64 s0, v6
	s_cbranch_execz .LBB30_7
; %bb.9:                                ;   in Loop: Header=BB30_8 Depth=1
	s_wait_kmcnt 0x0
	global_load_b32 v6, v6, s[4:5] scale_offset
	s_wait_loadcnt 0x0
	v_subrev_nc_u32_e32 v6, s14, v6
	s_delay_alu instid0(VALU_DEP_1)
	v_mad_u32 v6, v6, 5, v5
	global_load_b32 v7, v4, s[6:7] scale_offset
	global_load_b32 v8, v6, s[16:17] scale_offset
	s_wait_loadcnt 0x0
	v_fmac_f32_e32 v1, v7, v8
	s_branch .LBB30_7
.LBB30_10:
	v_lshlrev_b32_e32 v2, 2, v0
	s_and_b32 vcc_lo, exec_lo, s3
	ds_store_b32 v2, v1
	s_wait_dscnt 0x0
	s_barrier_signal -1
	s_barrier_wait -1
	s_cbranch_vccz .LBB30_20
; %bb.11:
	v_cmp_eq_u16_e32 vcc_lo, 0, v3
	s_and_saveexec_b32 s0, vcc_lo
	s_cbranch_execz .LBB30_13
; %bb.12:
	ds_load_2addr_b32 v[4:5], v2 offset1:4
	s_wait_dscnt 0x0
	v_add_f32_e32 v4, v5, v4
	ds_store_b32 v2, v4
.LBB30_13:
	s_or_b32 exec_lo, exec_lo, s0
	s_delay_alu instid0(SALU_CYCLE_1)
	s_mov_b32 s1, exec_lo
	s_wait_dscnt 0x0
	s_barrier_signal -1
	s_barrier_wait -1
	v_cmpx_gt_u16_e32 2, v3
	s_cbranch_execz .LBB30_15
; %bb.14:
	ds_load_2addr_b32 v[4:5], v2 offset1:2
	s_wait_dscnt 0x0
	v_add_f32_e32 v3, v5, v4
	ds_store_b32 v2, v3
.LBB30_15:
	s_or_b32 exec_lo, exec_lo, s1
	s_wait_dscnt 0x0
	s_barrier_signal -1
	s_barrier_wait -1
	s_and_saveexec_b32 s0, vcc_lo
	s_cbranch_execz .LBB30_17
; %bb.16:
	ds_load_2addr_b32 v[4:5], v2 offset1:1
	s_wait_dscnt 0x0
	v_add_f32_e32 v3, v5, v4
	ds_store_b32 v2, v3
.LBB30_17:
	s_or_b32 exec_lo, exec_lo, s0
	v_mov_b32_e32 v3, v1
	s_mov_b32 s0, exec_lo
	s_wait_dscnt 0x0
	s_barrier_signal -1
	s_barrier_wait -1
	v_cmpx_gt_u32_e32 16, v0
; %bb.18:
	v_lshl_add_u32 v3, v0, 4, v2
	ds_load_b32 v3, v3
; %bb.19:
	s_or_b32 exec_lo, exec_lo, s0
	v_cmp_gt_u32_e64 s0, 16, v0
	s_branch .LBB30_30
.LBB30_20:
                                        ; implicit-def: $vgpr3
	v_cmp_gt_u32_e64 s0, 16, v0
	s_cbranch_execz .LBB30_30
; %bb.21:
	v_cmp_lt_u32_e32 vcc_lo, 15, v0
	s_and_saveexec_b32 s1, s0
	s_cbranch_execz .LBB30_23
; %bb.22:
	ds_load_2addr_stride64_b32 v[4:5], v2 offset1:1
	s_wait_dscnt 0x0
	v_add_f32_e32 v3, v5, v4
	ds_store_b32 v2, v3
.LBB30_23:
	s_or_b32 exec_lo, exec_lo, s1
	s_delay_alu instid0(SALU_CYCLE_1)
	s_mov_b32 s1, exec_lo
	s_wait_dscnt 0x0
	s_barrier_signal -1
	s_barrier_wait -1
	v_cmpx_gt_u32_e32 32, v0
	s_cbranch_execz .LBB30_25
; %bb.24:
	ds_load_2addr_b32 v[4:5], v2 offset1:32
	s_wait_dscnt 0x0
	v_add_f32_e32 v3, v5, v4
	ds_store_b32 v2, v3
.LBB30_25:
	s_or_b32 exec_lo, exec_lo, s1
	s_wait_dscnt 0x0
	s_and_saveexec_b32 s0, vcc_lo
	s_delay_alu instid0(SALU_CYCLE_1)
	s_xor_b32 s0, exec_lo, s0
; %bb.26:
                                        ; implicit-def: $vgpr2
; %bb.27:
	s_delay_alu instid0(SALU_CYCLE_1)
	s_and_not1_saveexec_b32 s0, s0
	s_cbranch_execz .LBB30_29
; %bb.28:
	ds_load_2addr_b32 v[4:5], v2 offset1:16
	s_wait_dscnt 0x0
	v_add_f32_e32 v1, v5, v4
	ds_store_b32 v2, v1
	s_wait_dscnt 0x0
	ds_load_b32 v1, v2
.LBB30_29:
	s_or_b32 exec_lo, exec_lo, s0
	s_wait_dscnt 0x0
	v_mov_b32_e32 v3, v1
.LBB30_30:
	s_mov_b32 s0, exec_lo
	v_cmpx_gt_u32_e32 16, v0
	s_cbranch_execz .LBB30_34
; %bb.31:
	s_wait_dscnt 0x0
	v_mul_f32_e32 v1, s8, v3
	v_lshl_or_b32 v0, s12, 4, v0
	s_cmp_eq_f32 s2, 0
	s_mov_b32 s0, 0
	s_cbranch_scc0 .LBB30_35
; %bb.32:
	global_store_b32 v0, v1, s[10:11] scale_offset
	s_and_not1_b32 vcc_lo, exec_lo, s0
	s_cbranch_vccnz .LBB30_34
.LBB30_33:
	global_load_b32 v2, v0, s[10:11] scale_offset
	s_wait_loadcnt 0x0
	s_wait_xcnt 0x1
	v_fmac_f32_e32 v1, s2, v2
	global_store_b32 v0, v1, s[10:11] scale_offset
.LBB30_34:
	s_endpgm
.LBB30_35:
	s_branch .LBB30_33
	.section	.rodata,"a",@progbits
	.p2align	6, 0x0
	.amdhsa_kernel _ZN9rocsparseL22gebsrmvn_mxn_16_kernelILj80ELj16ELj5EfEEvi20rocsparse_direction_NS_24const_host_device_scalarIT2_EEPKiS6_PKS3_iiS8_S4_PS3_21rocsparse_index_base_b
		.amdhsa_group_segment_fixed_size 320
		.amdhsa_private_segment_fixed_size 0
		.amdhsa_kernarg_size 80
		.amdhsa_user_sgpr_count 2
		.amdhsa_user_sgpr_dispatch_ptr 0
		.amdhsa_user_sgpr_queue_ptr 0
		.amdhsa_user_sgpr_kernarg_segment_ptr 1
		.amdhsa_user_sgpr_dispatch_id 0
		.amdhsa_user_sgpr_kernarg_preload_length 0
		.amdhsa_user_sgpr_kernarg_preload_offset 0
		.amdhsa_user_sgpr_private_segment_size 0
		.amdhsa_wavefront_size32 1
		.amdhsa_uses_dynamic_stack 0
		.amdhsa_enable_private_segment 0
		.amdhsa_system_sgpr_workgroup_id_x 1
		.amdhsa_system_sgpr_workgroup_id_y 0
		.amdhsa_system_sgpr_workgroup_id_z 0
		.amdhsa_system_sgpr_workgroup_info 0
		.amdhsa_system_vgpr_workitem_id 0
		.amdhsa_next_free_vgpr 9
		.amdhsa_next_free_sgpr 20
		.amdhsa_named_barrier_count 0
		.amdhsa_reserve_vcc 1
		.amdhsa_float_round_mode_32 0
		.amdhsa_float_round_mode_16_64 0
		.amdhsa_float_denorm_mode_32 3
		.amdhsa_float_denorm_mode_16_64 3
		.amdhsa_fp16_overflow 0
		.amdhsa_memory_ordered 1
		.amdhsa_forward_progress 1
		.amdhsa_inst_pref_size 9
		.amdhsa_round_robin_scheduling 0
		.amdhsa_exception_fp_ieee_invalid_op 0
		.amdhsa_exception_fp_denorm_src 0
		.amdhsa_exception_fp_ieee_div_zero 0
		.amdhsa_exception_fp_ieee_overflow 0
		.amdhsa_exception_fp_ieee_underflow 0
		.amdhsa_exception_fp_ieee_inexact 0
		.amdhsa_exception_int_div_zero 0
	.end_amdhsa_kernel
	.section	.text._ZN9rocsparseL22gebsrmvn_mxn_16_kernelILj80ELj16ELj5EfEEvi20rocsparse_direction_NS_24const_host_device_scalarIT2_EEPKiS6_PKS3_iiS8_S4_PS3_21rocsparse_index_base_b,"axG",@progbits,_ZN9rocsparseL22gebsrmvn_mxn_16_kernelILj80ELj16ELj5EfEEvi20rocsparse_direction_NS_24const_host_device_scalarIT2_EEPKiS6_PKS3_iiS8_S4_PS3_21rocsparse_index_base_b,comdat
.Lfunc_end30:
	.size	_ZN9rocsparseL22gebsrmvn_mxn_16_kernelILj80ELj16ELj5EfEEvi20rocsparse_direction_NS_24const_host_device_scalarIT2_EEPKiS6_PKS3_iiS8_S4_PS3_21rocsparse_index_base_b, .Lfunc_end30-_ZN9rocsparseL22gebsrmvn_mxn_16_kernelILj80ELj16ELj5EfEEvi20rocsparse_direction_NS_24const_host_device_scalarIT2_EEPKiS6_PKS3_iiS8_S4_PS3_21rocsparse_index_base_b
                                        ; -- End function
	.set _ZN9rocsparseL22gebsrmvn_mxn_16_kernelILj80ELj16ELj5EfEEvi20rocsparse_direction_NS_24const_host_device_scalarIT2_EEPKiS6_PKS3_iiS8_S4_PS3_21rocsparse_index_base_b.num_vgpr, 9
	.set _ZN9rocsparseL22gebsrmvn_mxn_16_kernelILj80ELj16ELj5EfEEvi20rocsparse_direction_NS_24const_host_device_scalarIT2_EEPKiS6_PKS3_iiS8_S4_PS3_21rocsparse_index_base_b.num_agpr, 0
	.set _ZN9rocsparseL22gebsrmvn_mxn_16_kernelILj80ELj16ELj5EfEEvi20rocsparse_direction_NS_24const_host_device_scalarIT2_EEPKiS6_PKS3_iiS8_S4_PS3_21rocsparse_index_base_b.numbered_sgpr, 20
	.set _ZN9rocsparseL22gebsrmvn_mxn_16_kernelILj80ELj16ELj5EfEEvi20rocsparse_direction_NS_24const_host_device_scalarIT2_EEPKiS6_PKS3_iiS8_S4_PS3_21rocsparse_index_base_b.num_named_barrier, 0
	.set _ZN9rocsparseL22gebsrmvn_mxn_16_kernelILj80ELj16ELj5EfEEvi20rocsparse_direction_NS_24const_host_device_scalarIT2_EEPKiS6_PKS3_iiS8_S4_PS3_21rocsparse_index_base_b.private_seg_size, 0
	.set _ZN9rocsparseL22gebsrmvn_mxn_16_kernelILj80ELj16ELj5EfEEvi20rocsparse_direction_NS_24const_host_device_scalarIT2_EEPKiS6_PKS3_iiS8_S4_PS3_21rocsparse_index_base_b.uses_vcc, 1
	.set _ZN9rocsparseL22gebsrmvn_mxn_16_kernelILj80ELj16ELj5EfEEvi20rocsparse_direction_NS_24const_host_device_scalarIT2_EEPKiS6_PKS3_iiS8_S4_PS3_21rocsparse_index_base_b.uses_flat_scratch, 0
	.set _ZN9rocsparseL22gebsrmvn_mxn_16_kernelILj80ELj16ELj5EfEEvi20rocsparse_direction_NS_24const_host_device_scalarIT2_EEPKiS6_PKS3_iiS8_S4_PS3_21rocsparse_index_base_b.has_dyn_sized_stack, 0
	.set _ZN9rocsparseL22gebsrmvn_mxn_16_kernelILj80ELj16ELj5EfEEvi20rocsparse_direction_NS_24const_host_device_scalarIT2_EEPKiS6_PKS3_iiS8_S4_PS3_21rocsparse_index_base_b.has_recursion, 0
	.set _ZN9rocsparseL22gebsrmvn_mxn_16_kernelILj80ELj16ELj5EfEEvi20rocsparse_direction_NS_24const_host_device_scalarIT2_EEPKiS6_PKS3_iiS8_S4_PS3_21rocsparse_index_base_b.has_indirect_call, 0
	.section	.AMDGPU.csdata,"",@progbits
; Kernel info:
; codeLenInByte = 1068
; TotalNumSgprs: 22
; NumVgprs: 9
; ScratchSize: 0
; MemoryBound: 0
; FloatMode: 240
; IeeeMode: 1
; LDSByteSize: 320 bytes/workgroup (compile time only)
; SGPRBlocks: 0
; VGPRBlocks: 0
; NumSGPRsForWavesPerEU: 22
; NumVGPRsForWavesPerEU: 9
; NamedBarCnt: 0
; Occupancy: 16
; WaveLimiterHint : 1
; COMPUTE_PGM_RSRC2:SCRATCH_EN: 0
; COMPUTE_PGM_RSRC2:USER_SGPR: 2
; COMPUTE_PGM_RSRC2:TRAP_HANDLER: 0
; COMPUTE_PGM_RSRC2:TGID_X_EN: 1
; COMPUTE_PGM_RSRC2:TGID_Y_EN: 0
; COMPUTE_PGM_RSRC2:TGID_Z_EN: 0
; COMPUTE_PGM_RSRC2:TIDIG_COMP_CNT: 0
	.section	.text._ZN9rocsparseL22gebsrmvn_mxn_16_kernelILj96ELj16ELj6EfEEvi20rocsparse_direction_NS_24const_host_device_scalarIT2_EEPKiS6_PKS3_iiS8_S4_PS3_21rocsparse_index_base_b,"axG",@progbits,_ZN9rocsparseL22gebsrmvn_mxn_16_kernelILj96ELj16ELj6EfEEvi20rocsparse_direction_NS_24const_host_device_scalarIT2_EEPKiS6_PKS3_iiS8_S4_PS3_21rocsparse_index_base_b,comdat
	.globl	_ZN9rocsparseL22gebsrmvn_mxn_16_kernelILj96ELj16ELj6EfEEvi20rocsparse_direction_NS_24const_host_device_scalarIT2_EEPKiS6_PKS3_iiS8_S4_PS3_21rocsparse_index_base_b ; -- Begin function _ZN9rocsparseL22gebsrmvn_mxn_16_kernelILj96ELj16ELj6EfEEvi20rocsparse_direction_NS_24const_host_device_scalarIT2_EEPKiS6_PKS3_iiS8_S4_PS3_21rocsparse_index_base_b
	.p2align	8
	.type	_ZN9rocsparseL22gebsrmvn_mxn_16_kernelILj96ELj16ELj6EfEEvi20rocsparse_direction_NS_24const_host_device_scalarIT2_EEPKiS6_PKS3_iiS8_S4_PS3_21rocsparse_index_base_b,@function
_ZN9rocsparseL22gebsrmvn_mxn_16_kernelILj96ELj16ELj6EfEEvi20rocsparse_direction_NS_24const_host_device_scalarIT2_EEPKiS6_PKS3_iiS8_S4_PS3_21rocsparse_index_base_b: ; @_ZN9rocsparseL22gebsrmvn_mxn_16_kernelILj96ELj16ELj6EfEEvi20rocsparse_direction_NS_24const_host_device_scalarIT2_EEPKiS6_PKS3_iiS8_S4_PS3_21rocsparse_index_base_b
; %bb.0:
	s_clause 0x2
	s_load_b64 s[14:15], s[0:1], 0x48
	s_load_b64 s[8:9], s[0:1], 0x8
	;; [unrolled: 1-line block ×3, first 2 shown]
	s_wait_kmcnt 0x0
	s_bitcmp1_b32 s15, 0
	s_cselect_b32 s4, -1, 0
	s_delay_alu instid0(SALU_CYCLE_1)
	s_and_b32 vcc_lo, exec_lo, s4
	s_xor_b32 s4, s4, -1
	s_cbranch_vccnz .LBB31_2
; %bb.1:
	s_load_b32 s8, s[8:9], 0x0
.LBB31_2:
	s_and_not1_b32 vcc_lo, exec_lo, s4
	s_cbranch_vccnz .LBB31_4
; %bb.3:
	s_load_b32 s2, s[2:3], 0x0
.LBB31_4:
	s_wait_kmcnt 0x0
	s_cmp_eq_f32 s8, 0
	s_cselect_b32 s3, -1, 0
	s_cmp_eq_f32 s2, 1.0
	s_cselect_b32 s4, -1, 0
	s_delay_alu instid0(SALU_CYCLE_1) | instskip(NEXT) | instid1(SALU_CYCLE_1)
	s_and_b32 s3, s3, s4
	s_and_b32 vcc_lo, exec_lo, s3
	s_cbranch_vccnz .LBB31_34
; %bb.5:
	s_clause 0x1
	s_load_b32 s3, s[0:1], 0x4
	s_load_b64 s[4:5], s[0:1], 0x10
	s_bfe_u32 s6, ttmp6, 0x4000c
	s_and_b32 s7, ttmp6, 15
	s_add_co_i32 s6, s6, 1
	s_getreg_b32 s9, hwreg(HW_REG_IB_STS2, 6, 4)
	s_mul_i32 s6, ttmp9, s6
	v_mul_u32_u24_e32 v1, 0x2aab, v0
	s_add_co_i32 s7, s7, s6
	s_cmp_eq_u32 s9, 0
	s_load_b64 s[10:11], s[0:1], 0x40
	s_cselect_b32 s12, ttmp9, s7
	v_lshrrev_b32_e32 v1, 16, v1
	s_delay_alu instid0(VALU_DEP_1) | instskip(SKIP_2) | instid1(VALU_DEP_1)
	v_mul_lo_u16 v1, v1, 6
	s_wait_kmcnt 0x0
	s_cmp_eq_u32 s3, 1
	v_sub_nc_u16 v3, v0, v1
	s_cselect_b32 vcc_lo, -1, 0
	s_cmp_lg_u32 s3, 1
	v_mov_b32_e32 v1, 0
	s_cselect_b32 s3, -1, 0
	s_ashr_i32 s13, s12, 31
	s_delay_alu instid0(SALU_CYCLE_1) | instskip(NEXT) | instid1(SALU_CYCLE_1)
	s_lshl_b64 s[6:7], s[12:13], 2
	s_add_nc_u64 s[4:5], s[4:5], s[6:7]
	s_load_b64 s[18:19], s[4:5], 0x0
	s_wait_kmcnt 0x0
	s_cmp_ge_i32 s18, s19
	s_cbranch_scc1 .LBB31_10
; %bb.6:
	v_lshrrev_b32_e32 v1, 4, v0
	s_clause 0x1
	s_load_b128 s[4:7], s[0:1], 0x18
	s_load_b64 s[16:17], s[0:1], 0x30
	v_mad_u32 v5, 0x60, s18, v0
	v_and_b32_e32 v4, 0xffff, v0
	v_and_b32_e32 v6, 0xffff, v3
	v_mul_lo_u16 v2, v1, 43
	s_wait_xcnt 0x0
	s_mul_i32 s0, s14, 0x60
	s_sub_co_i32 s1, s18, s14
	s_delay_alu instid0(VALU_DEP_1) | instskip(NEXT) | instid1(VALU_DEP_1)
	v_lshrrev_b16 v2, 8, v2
	v_mul_lo_u16 v2, v2, 6
	s_delay_alu instid0(VALU_DEP_1) | instskip(SKIP_3) | instid1(VALU_DEP_3)
	v_sub_nc_u16 v1, v1, v2
	v_mul_u32_u24_e32 v2, 0x2ab, v4
	v_subrev_nc_u32_e32 v4, s0, v5
	s_sub_co_i32 s0, s19, s14
	v_and_b32_e32 v1, 0xff, v1
	s_delay_alu instid0(VALU_DEP_1)
	v_dual_cndmask_b32 v5, v6, v1 :: v_dual_lshrrev_b32 v2, 16, v2
	v_mov_b32_e32 v1, 0
	s_branch .LBB31_8
.LBB31_7:                               ;   in Loop: Header=BB31_8 Depth=1
	s_or_b32 exec_lo, exec_lo, s9
	v_add_nc_u32_e32 v4, 0x60, v4
	s_add_co_i32 s1, s1, 1
	s_delay_alu instid0(SALU_CYCLE_1)
	s_cmp_ge_i32 s1, s0
	s_cbranch_scc1 .LBB31_10
.LBB31_8:                               ; =>This Inner Loop Header: Depth=1
	s_delay_alu instid0(VALU_DEP_2) | instskip(SKIP_1) | instid1(VALU_DEP_1)
	v_add_nc_u32_e32 v6, s1, v2
	s_mov_b32 s9, exec_lo
	v_cmpx_gt_i32_e64 s0, v6
	s_cbranch_execz .LBB31_7
; %bb.9:                                ;   in Loop: Header=BB31_8 Depth=1
	s_wait_kmcnt 0x0
	global_load_b32 v6, v6, s[4:5] scale_offset
	s_wait_loadcnt 0x0
	v_subrev_nc_u32_e32 v6, s14, v6
	s_delay_alu instid0(VALU_DEP_1)
	v_mad_u32 v6, v6, 6, v5
	global_load_b32 v7, v4, s[6:7] scale_offset
	global_load_b32 v8, v6, s[16:17] scale_offset
	s_wait_loadcnt 0x0
	v_fmac_f32_e32 v1, v7, v8
	s_branch .LBB31_7
.LBB31_10:
	v_lshlrev_b32_e32 v2, 2, v0
	s_and_b32 vcc_lo, exec_lo, s3
	ds_store_b32 v2, v1
	s_wait_dscnt 0x0
	s_barrier_signal -1
	s_barrier_wait -1
	s_cbranch_vccz .LBB31_20
; %bb.11:
	v_cmp_gt_u16_e32 vcc_lo, 2, v3
	s_and_saveexec_b32 s0, vcc_lo
	s_cbranch_execz .LBB31_13
; %bb.12:
	ds_load_2addr_b32 v[4:5], v2 offset1:4
	s_wait_dscnt 0x0
	v_add_f32_e32 v4, v5, v4
	ds_store_b32 v2, v4
.LBB31_13:
	s_or_b32 exec_lo, exec_lo, s0
	s_wait_dscnt 0x0
	s_barrier_signal -1
	s_barrier_wait -1
	s_and_saveexec_b32 s0, vcc_lo
	s_cbranch_execz .LBB31_15
; %bb.14:
	ds_load_2addr_b32 v[4:5], v2 offset1:2
	s_wait_dscnt 0x0
	v_add_f32_e32 v4, v5, v4
	ds_store_b32 v2, v4
.LBB31_15:
	s_or_b32 exec_lo, exec_lo, s0
	s_delay_alu instid0(SALU_CYCLE_1)
	s_mov_b32 s0, exec_lo
	s_wait_dscnt 0x0
	s_barrier_signal -1
	s_barrier_wait -1
	v_cmpx_eq_u16_e32 0, v3
	s_cbranch_execz .LBB31_17
; %bb.16:
	ds_load_2addr_b32 v[4:5], v2 offset1:1
	s_wait_dscnt 0x0
	v_add_f32_e32 v3, v5, v4
	ds_store_b32 v2, v3
.LBB31_17:
	s_or_b32 exec_lo, exec_lo, s0
	v_mov_b32_e32 v3, v1
	s_mov_b32 s0, exec_lo
	s_wait_dscnt 0x0
	s_barrier_signal -1
	s_barrier_wait -1
	v_cmpx_gt_u32_e32 16, v0
; %bb.18:
	v_mad_u32_u24 v3, v0, 20, v2
	ds_load_b32 v3, v3
; %bb.19:
	s_or_b32 exec_lo, exec_lo, s0
	s_branch .LBB31_30
.LBB31_20:
                                        ; implicit-def: $vgpr3
	s_cbranch_execz .LBB31_30
; %bb.21:
	v_cmp_gt_u32_e32 vcc_lo, 32, v0
	s_and_saveexec_b32 s0, vcc_lo
	s_cbranch_execz .LBB31_23
; %bb.22:
	ds_load_2addr_stride64_b32 v[4:5], v2 offset1:1
	s_wait_dscnt 0x0
	v_add_f32_e32 v3, v5, v4
	ds_store_b32 v2, v3
.LBB31_23:
	s_or_b32 exec_lo, exec_lo, s0
	s_wait_dscnt 0x0
	s_barrier_signal -1
	s_barrier_wait -1
	s_and_saveexec_b32 s0, vcc_lo
	s_cbranch_execz .LBB31_25
; %bb.24:
	ds_load_2addr_b32 v[4:5], v2 offset1:32
	s_wait_dscnt 0x0
	v_add_f32_e32 v3, v5, v4
	ds_store_b32 v2, v3
.LBB31_25:
	s_or_b32 exec_lo, exec_lo, s0
	s_delay_alu instid0(SALU_CYCLE_1)
	s_mov_b32 s0, exec_lo
	s_wait_dscnt 0x0
	v_cmpx_lt_u32_e32 15, v0
	s_xor_b32 s0, exec_lo, s0
; %bb.26:
                                        ; implicit-def: $vgpr2
; %bb.27:
	s_delay_alu instid0(SALU_CYCLE_1)
	s_and_not1_saveexec_b32 s0, s0
	s_cbranch_execz .LBB31_29
; %bb.28:
	ds_load_2addr_b32 v[4:5], v2 offset1:16
	s_wait_dscnt 0x0
	v_add_f32_e32 v1, v5, v4
	ds_store_b32 v2, v1
	s_wait_dscnt 0x0
	ds_load_b32 v1, v2
.LBB31_29:
	s_or_b32 exec_lo, exec_lo, s0
	s_wait_dscnt 0x0
	v_mov_b32_e32 v3, v1
.LBB31_30:
	s_mov_b32 s0, exec_lo
	v_cmpx_gt_u32_e32 16, v0
	s_cbranch_execz .LBB31_34
; %bb.31:
	s_wait_dscnt 0x0
	v_mul_f32_e32 v1, s8, v3
	v_lshl_or_b32 v0, s12, 4, v0
	s_cmp_eq_f32 s2, 0
	s_mov_b32 s0, 0
	s_cbranch_scc0 .LBB31_35
; %bb.32:
	global_store_b32 v0, v1, s[10:11] scale_offset
	s_and_not1_b32 vcc_lo, exec_lo, s0
	s_cbranch_vccnz .LBB31_34
.LBB31_33:
	global_load_b32 v2, v0, s[10:11] scale_offset
	s_wait_loadcnt 0x0
	s_wait_xcnt 0x1
	v_fmac_f32_e32 v1, s2, v2
	global_store_b32 v0, v1, s[10:11] scale_offset
.LBB31_34:
	s_endpgm
.LBB31_35:
	s_branch .LBB31_33
	.section	.rodata,"a",@progbits
	.p2align	6, 0x0
	.amdhsa_kernel _ZN9rocsparseL22gebsrmvn_mxn_16_kernelILj96ELj16ELj6EfEEvi20rocsparse_direction_NS_24const_host_device_scalarIT2_EEPKiS6_PKS3_iiS8_S4_PS3_21rocsparse_index_base_b
		.amdhsa_group_segment_fixed_size 384
		.amdhsa_private_segment_fixed_size 0
		.amdhsa_kernarg_size 80
		.amdhsa_user_sgpr_count 2
		.amdhsa_user_sgpr_dispatch_ptr 0
		.amdhsa_user_sgpr_queue_ptr 0
		.amdhsa_user_sgpr_kernarg_segment_ptr 1
		.amdhsa_user_sgpr_dispatch_id 0
		.amdhsa_user_sgpr_kernarg_preload_length 0
		.amdhsa_user_sgpr_kernarg_preload_offset 0
		.amdhsa_user_sgpr_private_segment_size 0
		.amdhsa_wavefront_size32 1
		.amdhsa_uses_dynamic_stack 0
		.amdhsa_enable_private_segment 0
		.amdhsa_system_sgpr_workgroup_id_x 1
		.amdhsa_system_sgpr_workgroup_id_y 0
		.amdhsa_system_sgpr_workgroup_id_z 0
		.amdhsa_system_sgpr_workgroup_info 0
		.amdhsa_system_vgpr_workitem_id 0
		.amdhsa_next_free_vgpr 9
		.amdhsa_next_free_sgpr 20
		.amdhsa_named_barrier_count 0
		.amdhsa_reserve_vcc 1
		.amdhsa_float_round_mode_32 0
		.amdhsa_float_round_mode_16_64 0
		.amdhsa_float_denorm_mode_32 3
		.amdhsa_float_denorm_mode_16_64 3
		.amdhsa_fp16_overflow 0
		.amdhsa_memory_ordered 1
		.amdhsa_forward_progress 1
		.amdhsa_inst_pref_size 9
		.amdhsa_round_robin_scheduling 0
		.amdhsa_exception_fp_ieee_invalid_op 0
		.amdhsa_exception_fp_denorm_src 0
		.amdhsa_exception_fp_ieee_div_zero 0
		.amdhsa_exception_fp_ieee_overflow 0
		.amdhsa_exception_fp_ieee_underflow 0
		.amdhsa_exception_fp_ieee_inexact 0
		.amdhsa_exception_int_div_zero 0
	.end_amdhsa_kernel
	.section	.text._ZN9rocsparseL22gebsrmvn_mxn_16_kernelILj96ELj16ELj6EfEEvi20rocsparse_direction_NS_24const_host_device_scalarIT2_EEPKiS6_PKS3_iiS8_S4_PS3_21rocsparse_index_base_b,"axG",@progbits,_ZN9rocsparseL22gebsrmvn_mxn_16_kernelILj96ELj16ELj6EfEEvi20rocsparse_direction_NS_24const_host_device_scalarIT2_EEPKiS6_PKS3_iiS8_S4_PS3_21rocsparse_index_base_b,comdat
.Lfunc_end31:
	.size	_ZN9rocsparseL22gebsrmvn_mxn_16_kernelILj96ELj16ELj6EfEEvi20rocsparse_direction_NS_24const_host_device_scalarIT2_EEPKiS6_PKS3_iiS8_S4_PS3_21rocsparse_index_base_b, .Lfunc_end31-_ZN9rocsparseL22gebsrmvn_mxn_16_kernelILj96ELj16ELj6EfEEvi20rocsparse_direction_NS_24const_host_device_scalarIT2_EEPKiS6_PKS3_iiS8_S4_PS3_21rocsparse_index_base_b
                                        ; -- End function
	.set _ZN9rocsparseL22gebsrmvn_mxn_16_kernelILj96ELj16ELj6EfEEvi20rocsparse_direction_NS_24const_host_device_scalarIT2_EEPKiS6_PKS3_iiS8_S4_PS3_21rocsparse_index_base_b.num_vgpr, 9
	.set _ZN9rocsparseL22gebsrmvn_mxn_16_kernelILj96ELj16ELj6EfEEvi20rocsparse_direction_NS_24const_host_device_scalarIT2_EEPKiS6_PKS3_iiS8_S4_PS3_21rocsparse_index_base_b.num_agpr, 0
	.set _ZN9rocsparseL22gebsrmvn_mxn_16_kernelILj96ELj16ELj6EfEEvi20rocsparse_direction_NS_24const_host_device_scalarIT2_EEPKiS6_PKS3_iiS8_S4_PS3_21rocsparse_index_base_b.numbered_sgpr, 20
	.set _ZN9rocsparseL22gebsrmvn_mxn_16_kernelILj96ELj16ELj6EfEEvi20rocsparse_direction_NS_24const_host_device_scalarIT2_EEPKiS6_PKS3_iiS8_S4_PS3_21rocsparse_index_base_b.num_named_barrier, 0
	.set _ZN9rocsparseL22gebsrmvn_mxn_16_kernelILj96ELj16ELj6EfEEvi20rocsparse_direction_NS_24const_host_device_scalarIT2_EEPKiS6_PKS3_iiS8_S4_PS3_21rocsparse_index_base_b.private_seg_size, 0
	.set _ZN9rocsparseL22gebsrmvn_mxn_16_kernelILj96ELj16ELj6EfEEvi20rocsparse_direction_NS_24const_host_device_scalarIT2_EEPKiS6_PKS3_iiS8_S4_PS3_21rocsparse_index_base_b.uses_vcc, 1
	.set _ZN9rocsparseL22gebsrmvn_mxn_16_kernelILj96ELj16ELj6EfEEvi20rocsparse_direction_NS_24const_host_device_scalarIT2_EEPKiS6_PKS3_iiS8_S4_PS3_21rocsparse_index_base_b.uses_flat_scratch, 0
	.set _ZN9rocsparseL22gebsrmvn_mxn_16_kernelILj96ELj16ELj6EfEEvi20rocsparse_direction_NS_24const_host_device_scalarIT2_EEPKiS6_PKS3_iiS8_S4_PS3_21rocsparse_index_base_b.has_dyn_sized_stack, 0
	.set _ZN9rocsparseL22gebsrmvn_mxn_16_kernelILj96ELj16ELj6EfEEvi20rocsparse_direction_NS_24const_host_device_scalarIT2_EEPKiS6_PKS3_iiS8_S4_PS3_21rocsparse_index_base_b.has_recursion, 0
	.set _ZN9rocsparseL22gebsrmvn_mxn_16_kernelILj96ELj16ELj6EfEEvi20rocsparse_direction_NS_24const_host_device_scalarIT2_EEPKiS6_PKS3_iiS8_S4_PS3_21rocsparse_index_base_b.has_indirect_call, 0
	.section	.AMDGPU.csdata,"",@progbits
; Kernel info:
; codeLenInByte = 1048
; TotalNumSgprs: 22
; NumVgprs: 9
; ScratchSize: 0
; MemoryBound: 0
; FloatMode: 240
; IeeeMode: 1
; LDSByteSize: 384 bytes/workgroup (compile time only)
; SGPRBlocks: 0
; VGPRBlocks: 0
; NumSGPRsForWavesPerEU: 22
; NumVGPRsForWavesPerEU: 9
; NamedBarCnt: 0
; Occupancy: 16
; WaveLimiterHint : 1
; COMPUTE_PGM_RSRC2:SCRATCH_EN: 0
; COMPUTE_PGM_RSRC2:USER_SGPR: 2
; COMPUTE_PGM_RSRC2:TRAP_HANDLER: 0
; COMPUTE_PGM_RSRC2:TGID_X_EN: 1
; COMPUTE_PGM_RSRC2:TGID_Y_EN: 0
; COMPUTE_PGM_RSRC2:TGID_Z_EN: 0
; COMPUTE_PGM_RSRC2:TIDIG_COMP_CNT: 0
	.section	.text._ZN9rocsparseL22gebsrmvn_mxn_16_kernelILj112ELj16ELj7EfEEvi20rocsparse_direction_NS_24const_host_device_scalarIT2_EEPKiS6_PKS3_iiS8_S4_PS3_21rocsparse_index_base_b,"axG",@progbits,_ZN9rocsparseL22gebsrmvn_mxn_16_kernelILj112ELj16ELj7EfEEvi20rocsparse_direction_NS_24const_host_device_scalarIT2_EEPKiS6_PKS3_iiS8_S4_PS3_21rocsparse_index_base_b,comdat
	.globl	_ZN9rocsparseL22gebsrmvn_mxn_16_kernelILj112ELj16ELj7EfEEvi20rocsparse_direction_NS_24const_host_device_scalarIT2_EEPKiS6_PKS3_iiS8_S4_PS3_21rocsparse_index_base_b ; -- Begin function _ZN9rocsparseL22gebsrmvn_mxn_16_kernelILj112ELj16ELj7EfEEvi20rocsparse_direction_NS_24const_host_device_scalarIT2_EEPKiS6_PKS3_iiS8_S4_PS3_21rocsparse_index_base_b
	.p2align	8
	.type	_ZN9rocsparseL22gebsrmvn_mxn_16_kernelILj112ELj16ELj7EfEEvi20rocsparse_direction_NS_24const_host_device_scalarIT2_EEPKiS6_PKS3_iiS8_S4_PS3_21rocsparse_index_base_b,@function
_ZN9rocsparseL22gebsrmvn_mxn_16_kernelILj112ELj16ELj7EfEEvi20rocsparse_direction_NS_24const_host_device_scalarIT2_EEPKiS6_PKS3_iiS8_S4_PS3_21rocsparse_index_base_b: ; @_ZN9rocsparseL22gebsrmvn_mxn_16_kernelILj112ELj16ELj7EfEEvi20rocsparse_direction_NS_24const_host_device_scalarIT2_EEPKiS6_PKS3_iiS8_S4_PS3_21rocsparse_index_base_b
; %bb.0:
	s_clause 0x2
	s_load_b64 s[14:15], s[0:1], 0x48
	s_load_b64 s[8:9], s[0:1], 0x8
	;; [unrolled: 1-line block ×3, first 2 shown]
	s_wait_kmcnt 0x0
	s_bitcmp1_b32 s15, 0
	s_cselect_b32 s4, -1, 0
	s_delay_alu instid0(SALU_CYCLE_1)
	s_and_b32 vcc_lo, exec_lo, s4
	s_xor_b32 s4, s4, -1
	s_cbranch_vccnz .LBB32_2
; %bb.1:
	s_load_b32 s8, s[8:9], 0x0
.LBB32_2:
	s_and_not1_b32 vcc_lo, exec_lo, s4
	s_cbranch_vccnz .LBB32_4
; %bb.3:
	s_load_b32 s2, s[2:3], 0x0
.LBB32_4:
	s_wait_kmcnt 0x0
	s_cmp_eq_f32 s8, 0
	s_cselect_b32 s3, -1, 0
	s_cmp_eq_f32 s2, 1.0
	s_cselect_b32 s4, -1, 0
	s_delay_alu instid0(SALU_CYCLE_1) | instskip(NEXT) | instid1(SALU_CYCLE_1)
	s_and_b32 s3, s3, s4
	s_and_b32 vcc_lo, exec_lo, s3
	s_cbranch_vccnz .LBB32_34
; %bb.5:
	s_clause 0x1
	s_load_b32 s3, s[0:1], 0x4
	s_load_b64 s[4:5], s[0:1], 0x10
	s_bfe_u32 s6, ttmp6, 0x4000c
	s_and_b32 s7, ttmp6, 15
	s_add_co_i32 s6, s6, 1
	s_getreg_b32 s9, hwreg(HW_REG_IB_STS2, 6, 4)
	s_mul_i32 s6, ttmp9, s6
	v_mul_u32_u24_e32 v1, 0x2493, v0
	s_add_co_i32 s7, s7, s6
	s_cmp_eq_u32 s9, 0
	s_load_b64 s[10:11], s[0:1], 0x40
	s_cselect_b32 s12, ttmp9, s7
	v_lshrrev_b32_e32 v1, 16, v1
	s_delay_alu instid0(VALU_DEP_1) | instskip(SKIP_2) | instid1(VALU_DEP_1)
	v_mul_lo_u16 v1, v1, 7
	s_wait_kmcnt 0x0
	s_cmp_eq_u32 s3, 1
	v_sub_nc_u16 v3, v0, v1
	s_cselect_b32 vcc_lo, -1, 0
	s_cmp_lg_u32 s3, 1
	v_mov_b32_e32 v1, 0
	s_cselect_b32 s3, -1, 0
	s_ashr_i32 s13, s12, 31
	s_delay_alu instid0(SALU_CYCLE_1) | instskip(NEXT) | instid1(SALU_CYCLE_1)
	s_lshl_b64 s[6:7], s[12:13], 2
	s_add_nc_u64 s[4:5], s[4:5], s[6:7]
	s_load_b64 s[18:19], s[4:5], 0x0
	s_wait_kmcnt 0x0
	s_cmp_ge_i32 s18, s19
	s_cbranch_scc1 .LBB32_10
; %bb.6:
	v_lshrrev_b32_e32 v1, 4, v0
	s_clause 0x1
	s_load_b128 s[4:7], s[0:1], 0x18
	s_load_b64 s[16:17], s[0:1], 0x30
	v_mad_u32 v5, 0x70, s18, v0
	v_and_b32_e32 v4, 0xffff, v0
	v_and_b32_e32 v6, 0xffff, v3
	v_mul_lo_u16 v2, v1, 37
	s_wait_xcnt 0x0
	s_mul_i32 s0, s14, 0x70
	s_sub_co_i32 s1, s18, s14
	s_delay_alu instid0(VALU_DEP_1) | instskip(NEXT) | instid1(VALU_DEP_1)
	v_lshrrev_b16 v2, 8, v2
	v_mul_lo_u16 v2, v2, 7
	s_delay_alu instid0(VALU_DEP_1) | instskip(SKIP_3) | instid1(VALU_DEP_3)
	v_sub_nc_u16 v1, v1, v2
	v_mul_u32_u24_e32 v2, 0x24a, v4
	v_subrev_nc_u32_e32 v4, s0, v5
	s_sub_co_i32 s0, s19, s14
	v_and_b32_e32 v1, 0xff, v1
	s_delay_alu instid0(VALU_DEP_1)
	v_dual_cndmask_b32 v5, v6, v1 :: v_dual_lshrrev_b32 v2, 16, v2
	v_mov_b32_e32 v1, 0
	s_branch .LBB32_8
.LBB32_7:                               ;   in Loop: Header=BB32_8 Depth=1
	s_or_b32 exec_lo, exec_lo, s9
	v_add_nc_u32_e32 v4, 0x70, v4
	s_add_co_i32 s1, s1, 1
	s_delay_alu instid0(SALU_CYCLE_1)
	s_cmp_ge_i32 s1, s0
	s_cbranch_scc1 .LBB32_10
.LBB32_8:                               ; =>This Inner Loop Header: Depth=1
	s_delay_alu instid0(VALU_DEP_2) | instskip(SKIP_1) | instid1(VALU_DEP_1)
	v_add_nc_u32_e32 v6, s1, v2
	s_mov_b32 s9, exec_lo
	v_cmpx_gt_i32_e64 s0, v6
	s_cbranch_execz .LBB32_7
; %bb.9:                                ;   in Loop: Header=BB32_8 Depth=1
	s_wait_kmcnt 0x0
	global_load_b32 v6, v6, s[4:5] scale_offset
	s_wait_loadcnt 0x0
	v_subrev_nc_u32_e32 v6, s14, v6
	s_delay_alu instid0(VALU_DEP_1)
	v_mad_u32 v6, v6, 7, v5
	global_load_b32 v7, v4, s[6:7] scale_offset
	global_load_b32 v8, v6, s[16:17] scale_offset
	s_wait_loadcnt 0x0
	v_fmac_f32_e32 v1, v7, v8
	s_branch .LBB32_7
.LBB32_10:
	v_lshlrev_b32_e32 v2, 2, v0
	s_and_b32 vcc_lo, exec_lo, s3
	ds_store_b32 v2, v1
	s_wait_dscnt 0x0
	s_barrier_signal -1
	s_barrier_wait -1
	s_cbranch_vccz .LBB32_20
; %bb.11:
	s_mov_b32 s0, exec_lo
	v_cmpx_gt_u16_e32 3, v3
	s_cbranch_execz .LBB32_13
; %bb.12:
	ds_load_2addr_b32 v[4:5], v2 offset1:4
	s_wait_dscnt 0x0
	v_add_f32_e32 v4, v5, v4
	ds_store_b32 v2, v4
.LBB32_13:
	s_or_b32 exec_lo, exec_lo, s0
	s_delay_alu instid0(SALU_CYCLE_1)
	s_mov_b32 s0, exec_lo
	s_wait_dscnt 0x0
	s_barrier_signal -1
	s_barrier_wait -1
	v_cmpx_gt_u16_e32 2, v3
	s_cbranch_execz .LBB32_15
; %bb.14:
	ds_load_2addr_b32 v[4:5], v2 offset1:2
	s_wait_dscnt 0x0
	v_add_f32_e32 v4, v5, v4
	ds_store_b32 v2, v4
.LBB32_15:
	s_or_b32 exec_lo, exec_lo, s0
	s_delay_alu instid0(SALU_CYCLE_1)
	s_mov_b32 s0, exec_lo
	s_wait_dscnt 0x0
	s_barrier_signal -1
	s_barrier_wait -1
	v_cmpx_eq_u16_e32 0, v3
	s_cbranch_execz .LBB32_17
; %bb.16:
	ds_load_2addr_b32 v[4:5], v2 offset1:1
	s_wait_dscnt 0x0
	v_add_f32_e32 v3, v5, v4
	ds_store_b32 v2, v3
.LBB32_17:
	s_or_b32 exec_lo, exec_lo, s0
	v_mov_b32_e32 v3, v1
	s_mov_b32 s0, exec_lo
	s_wait_dscnt 0x0
	s_barrier_signal -1
	s_barrier_wait -1
	v_cmpx_gt_u32_e32 16, v0
; %bb.18:
	v_mad_u32_u24 v3, v0, 24, v2
	ds_load_b32 v3, v3
; %bb.19:
	s_or_b32 exec_lo, exec_lo, s0
	s_branch .LBB32_30
.LBB32_20:
                                        ; implicit-def: $vgpr3
	s_cbranch_execz .LBB32_30
; %bb.21:
	s_mov_b32 s0, exec_lo
	v_cmpx_gt_u32_e32 48, v0
	s_cbranch_execz .LBB32_23
; %bb.22:
	ds_load_2addr_stride64_b32 v[4:5], v2 offset1:1
	s_wait_dscnt 0x0
	v_add_f32_e32 v3, v5, v4
	ds_store_b32 v2, v3
.LBB32_23:
	s_or_b32 exec_lo, exec_lo, s0
	s_delay_alu instid0(SALU_CYCLE_1)
	s_mov_b32 s0, exec_lo
	s_wait_dscnt 0x0
	s_barrier_signal -1
	s_barrier_wait -1
	v_cmpx_gt_u32_e32 32, v0
	s_cbranch_execz .LBB32_25
; %bb.24:
	ds_load_2addr_b32 v[4:5], v2 offset1:32
	s_wait_dscnt 0x0
	v_add_f32_e32 v3, v5, v4
	ds_store_b32 v2, v3
.LBB32_25:
	s_or_b32 exec_lo, exec_lo, s0
	s_delay_alu instid0(SALU_CYCLE_1)
	s_mov_b32 s0, exec_lo
	s_wait_dscnt 0x0
	v_cmpx_lt_u32_e32 15, v0
	s_xor_b32 s0, exec_lo, s0
; %bb.26:
                                        ; implicit-def: $vgpr2
; %bb.27:
	s_delay_alu instid0(SALU_CYCLE_1)
	s_and_not1_saveexec_b32 s0, s0
	s_cbranch_execz .LBB32_29
; %bb.28:
	ds_load_2addr_b32 v[4:5], v2 offset1:16
	s_wait_dscnt 0x0
	v_add_f32_e32 v1, v5, v4
	ds_store_b32 v2, v1
	s_wait_dscnt 0x0
	ds_load_b32 v1, v2
.LBB32_29:
	s_or_b32 exec_lo, exec_lo, s0
	s_wait_dscnt 0x0
	v_mov_b32_e32 v3, v1
.LBB32_30:
	s_mov_b32 s0, exec_lo
	v_cmpx_gt_u32_e32 16, v0
	s_cbranch_execz .LBB32_34
; %bb.31:
	s_wait_dscnt 0x0
	v_mul_f32_e32 v1, s8, v3
	v_lshl_or_b32 v0, s12, 4, v0
	s_cmp_eq_f32 s2, 0
	s_mov_b32 s0, 0
	s_cbranch_scc0 .LBB32_35
; %bb.32:
	global_store_b32 v0, v1, s[10:11] scale_offset
	s_and_not1_b32 vcc_lo, exec_lo, s0
	s_cbranch_vccnz .LBB32_34
.LBB32_33:
	global_load_b32 v2, v0, s[10:11] scale_offset
	s_wait_loadcnt 0x0
	s_wait_xcnt 0x1
	v_fmac_f32_e32 v1, s2, v2
	global_store_b32 v0, v1, s[10:11] scale_offset
.LBB32_34:
	s_endpgm
.LBB32_35:
	s_branch .LBB32_33
	.section	.rodata,"a",@progbits
	.p2align	6, 0x0
	.amdhsa_kernel _ZN9rocsparseL22gebsrmvn_mxn_16_kernelILj112ELj16ELj7EfEEvi20rocsparse_direction_NS_24const_host_device_scalarIT2_EEPKiS6_PKS3_iiS8_S4_PS3_21rocsparse_index_base_b
		.amdhsa_group_segment_fixed_size 448
		.amdhsa_private_segment_fixed_size 0
		.amdhsa_kernarg_size 80
		.amdhsa_user_sgpr_count 2
		.amdhsa_user_sgpr_dispatch_ptr 0
		.amdhsa_user_sgpr_queue_ptr 0
		.amdhsa_user_sgpr_kernarg_segment_ptr 1
		.amdhsa_user_sgpr_dispatch_id 0
		.amdhsa_user_sgpr_kernarg_preload_length 0
		.amdhsa_user_sgpr_kernarg_preload_offset 0
		.amdhsa_user_sgpr_private_segment_size 0
		.amdhsa_wavefront_size32 1
		.amdhsa_uses_dynamic_stack 0
		.amdhsa_enable_private_segment 0
		.amdhsa_system_sgpr_workgroup_id_x 1
		.amdhsa_system_sgpr_workgroup_id_y 0
		.amdhsa_system_sgpr_workgroup_id_z 0
		.amdhsa_system_sgpr_workgroup_info 0
		.amdhsa_system_vgpr_workitem_id 0
		.amdhsa_next_free_vgpr 9
		.amdhsa_next_free_sgpr 20
		.amdhsa_named_barrier_count 0
		.amdhsa_reserve_vcc 1
		.amdhsa_float_round_mode_32 0
		.amdhsa_float_round_mode_16_64 0
		.amdhsa_float_denorm_mode_32 3
		.amdhsa_float_denorm_mode_16_64 3
		.amdhsa_fp16_overflow 0
		.amdhsa_memory_ordered 1
		.amdhsa_forward_progress 1
		.amdhsa_inst_pref_size 9
		.amdhsa_round_robin_scheduling 0
		.amdhsa_exception_fp_ieee_invalid_op 0
		.amdhsa_exception_fp_denorm_src 0
		.amdhsa_exception_fp_ieee_div_zero 0
		.amdhsa_exception_fp_ieee_overflow 0
		.amdhsa_exception_fp_ieee_underflow 0
		.amdhsa_exception_fp_ieee_inexact 0
		.amdhsa_exception_int_div_zero 0
	.end_amdhsa_kernel
	.section	.text._ZN9rocsparseL22gebsrmvn_mxn_16_kernelILj112ELj16ELj7EfEEvi20rocsparse_direction_NS_24const_host_device_scalarIT2_EEPKiS6_PKS3_iiS8_S4_PS3_21rocsparse_index_base_b,"axG",@progbits,_ZN9rocsparseL22gebsrmvn_mxn_16_kernelILj112ELj16ELj7EfEEvi20rocsparse_direction_NS_24const_host_device_scalarIT2_EEPKiS6_PKS3_iiS8_S4_PS3_21rocsparse_index_base_b,comdat
.Lfunc_end32:
	.size	_ZN9rocsparseL22gebsrmvn_mxn_16_kernelILj112ELj16ELj7EfEEvi20rocsparse_direction_NS_24const_host_device_scalarIT2_EEPKiS6_PKS3_iiS8_S4_PS3_21rocsparse_index_base_b, .Lfunc_end32-_ZN9rocsparseL22gebsrmvn_mxn_16_kernelILj112ELj16ELj7EfEEvi20rocsparse_direction_NS_24const_host_device_scalarIT2_EEPKiS6_PKS3_iiS8_S4_PS3_21rocsparse_index_base_b
                                        ; -- End function
	.set _ZN9rocsparseL22gebsrmvn_mxn_16_kernelILj112ELj16ELj7EfEEvi20rocsparse_direction_NS_24const_host_device_scalarIT2_EEPKiS6_PKS3_iiS8_S4_PS3_21rocsparse_index_base_b.num_vgpr, 9
	.set _ZN9rocsparseL22gebsrmvn_mxn_16_kernelILj112ELj16ELj7EfEEvi20rocsparse_direction_NS_24const_host_device_scalarIT2_EEPKiS6_PKS3_iiS8_S4_PS3_21rocsparse_index_base_b.num_agpr, 0
	.set _ZN9rocsparseL22gebsrmvn_mxn_16_kernelILj112ELj16ELj7EfEEvi20rocsparse_direction_NS_24const_host_device_scalarIT2_EEPKiS6_PKS3_iiS8_S4_PS3_21rocsparse_index_base_b.numbered_sgpr, 20
	.set _ZN9rocsparseL22gebsrmvn_mxn_16_kernelILj112ELj16ELj7EfEEvi20rocsparse_direction_NS_24const_host_device_scalarIT2_EEPKiS6_PKS3_iiS8_S4_PS3_21rocsparse_index_base_b.num_named_barrier, 0
	.set _ZN9rocsparseL22gebsrmvn_mxn_16_kernelILj112ELj16ELj7EfEEvi20rocsparse_direction_NS_24const_host_device_scalarIT2_EEPKiS6_PKS3_iiS8_S4_PS3_21rocsparse_index_base_b.private_seg_size, 0
	.set _ZN9rocsparseL22gebsrmvn_mxn_16_kernelILj112ELj16ELj7EfEEvi20rocsparse_direction_NS_24const_host_device_scalarIT2_EEPKiS6_PKS3_iiS8_S4_PS3_21rocsparse_index_base_b.uses_vcc, 1
	.set _ZN9rocsparseL22gebsrmvn_mxn_16_kernelILj112ELj16ELj7EfEEvi20rocsparse_direction_NS_24const_host_device_scalarIT2_EEPKiS6_PKS3_iiS8_S4_PS3_21rocsparse_index_base_b.uses_flat_scratch, 0
	.set _ZN9rocsparseL22gebsrmvn_mxn_16_kernelILj112ELj16ELj7EfEEvi20rocsparse_direction_NS_24const_host_device_scalarIT2_EEPKiS6_PKS3_iiS8_S4_PS3_21rocsparse_index_base_b.has_dyn_sized_stack, 0
	.set _ZN9rocsparseL22gebsrmvn_mxn_16_kernelILj112ELj16ELj7EfEEvi20rocsparse_direction_NS_24const_host_device_scalarIT2_EEPKiS6_PKS3_iiS8_S4_PS3_21rocsparse_index_base_b.has_recursion, 0
	.set _ZN9rocsparseL22gebsrmvn_mxn_16_kernelILj112ELj16ELj7EfEEvi20rocsparse_direction_NS_24const_host_device_scalarIT2_EEPKiS6_PKS3_iiS8_S4_PS3_21rocsparse_index_base_b.has_indirect_call, 0
	.section	.AMDGPU.csdata,"",@progbits
; Kernel info:
; codeLenInByte = 1064
; TotalNumSgprs: 22
; NumVgprs: 9
; ScratchSize: 0
; MemoryBound: 0
; FloatMode: 240
; IeeeMode: 1
; LDSByteSize: 448 bytes/workgroup (compile time only)
; SGPRBlocks: 0
; VGPRBlocks: 0
; NumSGPRsForWavesPerEU: 22
; NumVGPRsForWavesPerEU: 9
; NamedBarCnt: 0
; Occupancy: 16
; WaveLimiterHint : 1
; COMPUTE_PGM_RSRC2:SCRATCH_EN: 0
; COMPUTE_PGM_RSRC2:USER_SGPR: 2
; COMPUTE_PGM_RSRC2:TRAP_HANDLER: 0
; COMPUTE_PGM_RSRC2:TGID_X_EN: 1
; COMPUTE_PGM_RSRC2:TGID_Y_EN: 0
; COMPUTE_PGM_RSRC2:TGID_Z_EN: 0
; COMPUTE_PGM_RSRC2:TIDIG_COMP_CNT: 0
	.section	.text._ZN9rocsparseL22gebsrmvn_mxn_16_kernelILj128ELj16ELj8EfEEvi20rocsparse_direction_NS_24const_host_device_scalarIT2_EEPKiS6_PKS3_iiS8_S4_PS3_21rocsparse_index_base_b,"axG",@progbits,_ZN9rocsparseL22gebsrmvn_mxn_16_kernelILj128ELj16ELj8EfEEvi20rocsparse_direction_NS_24const_host_device_scalarIT2_EEPKiS6_PKS3_iiS8_S4_PS3_21rocsparse_index_base_b,comdat
	.globl	_ZN9rocsparseL22gebsrmvn_mxn_16_kernelILj128ELj16ELj8EfEEvi20rocsparse_direction_NS_24const_host_device_scalarIT2_EEPKiS6_PKS3_iiS8_S4_PS3_21rocsparse_index_base_b ; -- Begin function _ZN9rocsparseL22gebsrmvn_mxn_16_kernelILj128ELj16ELj8EfEEvi20rocsparse_direction_NS_24const_host_device_scalarIT2_EEPKiS6_PKS3_iiS8_S4_PS3_21rocsparse_index_base_b
	.p2align	8
	.type	_ZN9rocsparseL22gebsrmvn_mxn_16_kernelILj128ELj16ELj8EfEEvi20rocsparse_direction_NS_24const_host_device_scalarIT2_EEPKiS6_PKS3_iiS8_S4_PS3_21rocsparse_index_base_b,@function
_ZN9rocsparseL22gebsrmvn_mxn_16_kernelILj128ELj16ELj8EfEEvi20rocsparse_direction_NS_24const_host_device_scalarIT2_EEPKiS6_PKS3_iiS8_S4_PS3_21rocsparse_index_base_b: ; @_ZN9rocsparseL22gebsrmvn_mxn_16_kernelILj128ELj16ELj8EfEEvi20rocsparse_direction_NS_24const_host_device_scalarIT2_EEPKiS6_PKS3_iiS8_S4_PS3_21rocsparse_index_base_b
; %bb.0:
	s_clause 0x2
	s_load_b64 s[14:15], s[0:1], 0x48
	s_load_b64 s[8:9], s[0:1], 0x8
	;; [unrolled: 1-line block ×3, first 2 shown]
	s_wait_kmcnt 0x0
	s_bitcmp1_b32 s15, 0
	s_cselect_b32 s4, -1, 0
	s_delay_alu instid0(SALU_CYCLE_1)
	s_and_b32 vcc_lo, exec_lo, s4
	s_xor_b32 s4, s4, -1
	s_cbranch_vccnz .LBB33_2
; %bb.1:
	s_load_b32 s8, s[8:9], 0x0
.LBB33_2:
	s_and_not1_b32 vcc_lo, exec_lo, s4
	s_cbranch_vccnz .LBB33_4
; %bb.3:
	s_load_b32 s2, s[2:3], 0x0
.LBB33_4:
	s_wait_kmcnt 0x0
	s_cmp_eq_f32 s8, 0
	s_cselect_b32 s3, -1, 0
	s_cmp_eq_f32 s2, 1.0
	s_cselect_b32 s4, -1, 0
	s_delay_alu instid0(SALU_CYCLE_1) | instskip(NEXT) | instid1(SALU_CYCLE_1)
	s_and_b32 s3, s3, s4
	s_and_b32 vcc_lo, exec_lo, s3
	s_cbranch_vccnz .LBB33_34
; %bb.5:
	s_clause 0x1
	s_load_b32 s3, s[0:1], 0x4
	s_load_b64 s[4:5], s[0:1], 0x10
	s_bfe_u32 s6, ttmp6, 0x4000c
	s_and_b32 s7, ttmp6, 15
	s_add_co_i32 s6, s6, 1
	s_getreg_b32 s9, hwreg(HW_REG_IB_STS2, 6, 4)
	s_mul_i32 s6, ttmp9, s6
	v_dual_mov_b32 v1, 0 :: v_dual_bitop2_b32 v3, 7, v0 bitop3:0x40
	s_add_co_i32 s7, s7, s6
	s_cmp_eq_u32 s9, 0
	s_cselect_b32 s12, ttmp9, s7
	s_wait_kmcnt 0x0
	s_cmp_eq_u32 s3, 1
	s_cselect_b32 vcc_lo, -1, 0
	s_cmp_lg_u32 s3, 1
	s_cselect_b32 s3, -1, 0
	s_ashr_i32 s13, s12, 31
	s_delay_alu instid0(SALU_CYCLE_1) | instskip(NEXT) | instid1(SALU_CYCLE_1)
	s_lshl_b64 s[6:7], s[12:13], 2
	s_add_nc_u64 s[4:5], s[4:5], s[6:7]
	s_load_b64 s[18:19], s[4:5], 0x0
	s_load_b64 s[10:11], s[0:1], 0x40
	s_wait_kmcnt 0x0
	s_cmp_ge_i32 s18, s19
	s_cbranch_scc1 .LBB33_10
; %bb.6:
	s_clause 0x1
	s_load_b128 s[4:7], s[0:1], 0x18
	s_load_b64 s[16:17], s[0:1], 0x30
	v_lshrrev_b32_e32 v1, 4, v0
	v_lshl_or_b32 v4, s18, 7, v0
	s_wait_xcnt 0x0
	s_lshl_b32 s0, s14, 7
	s_sub_co_i32 s1, s18, s14
	v_dual_cndmask_b32 v2, v3, v1 :: v_dual_mov_b32 v1, 0
	v_subrev_nc_u32_e32 v4, s0, v4
	s_sub_co_i32 s0, s19, s14
	s_branch .LBB33_8
.LBB33_7:                               ;   in Loop: Header=BB33_8 Depth=1
	s_or_b32 exec_lo, exec_lo, s9
	v_add_nc_u32_e32 v4, 0x80, v4
	s_add_co_i32 s1, s1, 1
	s_delay_alu instid0(SALU_CYCLE_1)
	s_cmp_ge_i32 s1, s0
	s_cbranch_scc1 .LBB33_10
.LBB33_8:                               ; =>This Inner Loop Header: Depth=1
	s_cmp_lt_i32 s1, s0
	s_cselect_b32 s13, -1, 0
	s_delay_alu instid0(SALU_CYCLE_1)
	s_and_saveexec_b32 s9, s13
	s_cbranch_execz .LBB33_7
; %bb.9:                                ;   in Loop: Header=BB33_8 Depth=1
	v_mov_b32_e32 v5, s1
	s_wait_kmcnt 0x0
	global_load_b32 v5, v5, s[4:5] scale_offset
	s_wait_loadcnt 0x0
	v_subrev_nc_u32_e32 v5, s14, v5
	s_delay_alu instid0(VALU_DEP_1)
	v_lshl_or_b32 v5, v5, 3, v2
	global_load_b32 v6, v4, s[6:7] scale_offset
	global_load_b32 v7, v5, s[16:17] scale_offset
	s_wait_loadcnt 0x0
	v_fmac_f32_e32 v1, v6, v7
	s_branch .LBB33_7
.LBB33_10:
	v_lshlrev_b32_e32 v2, 2, v0
	s_and_b32 vcc_lo, exec_lo, s3
	ds_store_b32 v2, v1
	s_wait_dscnt 0x0
	s_barrier_signal -1
	s_barrier_wait -1
	s_cbranch_vccz .LBB33_20
; %bb.11:
	s_mov_b32 s0, exec_lo
	v_cmpx_gt_u32_e32 4, v3
	s_cbranch_execz .LBB33_13
; %bb.12:
	ds_load_2addr_b32 v[4:5], v2 offset1:4
	s_wait_dscnt 0x0
	v_add_f32_e32 v4, v5, v4
	ds_store_b32 v2, v4
.LBB33_13:
	s_or_b32 exec_lo, exec_lo, s0
	s_delay_alu instid0(SALU_CYCLE_1)
	s_mov_b32 s0, exec_lo
	s_wait_dscnt 0x0
	s_barrier_signal -1
	s_barrier_wait -1
	v_cmpx_gt_u32_e32 2, v3
	s_cbranch_execz .LBB33_15
; %bb.14:
	ds_load_2addr_b32 v[4:5], v2 offset1:2
	s_wait_dscnt 0x0
	v_add_f32_e32 v4, v5, v4
	ds_store_b32 v2, v4
.LBB33_15:
	s_or_b32 exec_lo, exec_lo, s0
	s_delay_alu instid0(SALU_CYCLE_1)
	s_mov_b32 s0, exec_lo
	s_wait_dscnt 0x0
	s_barrier_signal -1
	s_barrier_wait -1
	v_cmpx_eq_u32_e32 0, v3
	s_cbranch_execz .LBB33_17
; %bb.16:
	ds_load_2addr_b32 v[4:5], v2 offset1:1
	s_wait_dscnt 0x0
	v_add_f32_e32 v3, v5, v4
	ds_store_b32 v2, v3
.LBB33_17:
	s_or_b32 exec_lo, exec_lo, s0
	v_mov_b32_e32 v3, v1
	s_mov_b32 s0, exec_lo
	s_wait_dscnt 0x0
	s_barrier_signal -1
	s_barrier_wait -1
	v_cmpx_gt_u32_e32 16, v0
; %bb.18:
	v_mad_u32_u24 v3, v0, 28, v2
	ds_load_b32 v3, v3
; %bb.19:
	s_or_b32 exec_lo, exec_lo, s0
	s_branch .LBB33_30
.LBB33_20:
                                        ; implicit-def: $vgpr3
	s_cbranch_execz .LBB33_30
; %bb.21:
	s_mov_b32 s0, exec_lo
	v_cmpx_gt_u32_e32 64, v0
	s_cbranch_execz .LBB33_23
; %bb.22:
	ds_load_2addr_stride64_b32 v[4:5], v2 offset1:1
	s_wait_dscnt 0x0
	v_add_f32_e32 v3, v5, v4
	ds_store_b32 v2, v3
.LBB33_23:
	s_or_b32 exec_lo, exec_lo, s0
	s_delay_alu instid0(SALU_CYCLE_1)
	s_mov_b32 s0, exec_lo
	s_wait_dscnt 0x0
	s_barrier_signal -1
	s_barrier_wait -1
	v_cmpx_gt_u32_e32 32, v0
	s_cbranch_execz .LBB33_25
; %bb.24:
	ds_load_2addr_b32 v[4:5], v2 offset1:32
	s_wait_dscnt 0x0
	v_add_f32_e32 v3, v5, v4
	ds_store_b32 v2, v3
.LBB33_25:
	s_or_b32 exec_lo, exec_lo, s0
	s_delay_alu instid0(SALU_CYCLE_1)
	s_mov_b32 s0, exec_lo
	s_wait_dscnt 0x0
	v_cmpx_lt_u32_e32 15, v0
	s_xor_b32 s0, exec_lo, s0
; %bb.26:
                                        ; implicit-def: $vgpr2
; %bb.27:
	s_delay_alu instid0(SALU_CYCLE_1)
	s_and_not1_saveexec_b32 s0, s0
	s_cbranch_execz .LBB33_29
; %bb.28:
	ds_load_2addr_b32 v[4:5], v2 offset1:16
	s_wait_dscnt 0x0
	v_add_f32_e32 v1, v5, v4
	ds_store_b32 v2, v1
	s_wait_dscnt 0x0
	ds_load_b32 v1, v2
.LBB33_29:
	s_or_b32 exec_lo, exec_lo, s0
	s_wait_dscnt 0x0
	v_mov_b32_e32 v3, v1
.LBB33_30:
	s_mov_b32 s0, exec_lo
	v_cmpx_gt_u32_e32 16, v0
	s_cbranch_execz .LBB33_34
; %bb.31:
	s_wait_dscnt 0x0
	v_mul_f32_e32 v1, s8, v3
	v_lshl_or_b32 v0, s12, 4, v0
	s_cmp_eq_f32 s2, 0
	s_mov_b32 s0, 0
	s_cbranch_scc0 .LBB33_35
; %bb.32:
	global_store_b32 v0, v1, s[10:11] scale_offset
	s_and_not1_b32 vcc_lo, exec_lo, s0
	s_cbranch_vccnz .LBB33_34
.LBB33_33:
	global_load_b32 v2, v0, s[10:11] scale_offset
	s_wait_loadcnt 0x0
	s_wait_xcnt 0x1
	v_fmac_f32_e32 v1, s2, v2
	global_store_b32 v0, v1, s[10:11] scale_offset
.LBB33_34:
	s_endpgm
.LBB33_35:
	s_branch .LBB33_33
	.section	.rodata,"a",@progbits
	.p2align	6, 0x0
	.amdhsa_kernel _ZN9rocsparseL22gebsrmvn_mxn_16_kernelILj128ELj16ELj8EfEEvi20rocsparse_direction_NS_24const_host_device_scalarIT2_EEPKiS6_PKS3_iiS8_S4_PS3_21rocsparse_index_base_b
		.amdhsa_group_segment_fixed_size 512
		.amdhsa_private_segment_fixed_size 0
		.amdhsa_kernarg_size 80
		.amdhsa_user_sgpr_count 2
		.amdhsa_user_sgpr_dispatch_ptr 0
		.amdhsa_user_sgpr_queue_ptr 0
		.amdhsa_user_sgpr_kernarg_segment_ptr 1
		.amdhsa_user_sgpr_dispatch_id 0
		.amdhsa_user_sgpr_kernarg_preload_length 0
		.amdhsa_user_sgpr_kernarg_preload_offset 0
		.amdhsa_user_sgpr_private_segment_size 0
		.amdhsa_wavefront_size32 1
		.amdhsa_uses_dynamic_stack 0
		.amdhsa_enable_private_segment 0
		.amdhsa_system_sgpr_workgroup_id_x 1
		.amdhsa_system_sgpr_workgroup_id_y 0
		.amdhsa_system_sgpr_workgroup_id_z 0
		.amdhsa_system_sgpr_workgroup_info 0
		.amdhsa_system_vgpr_workitem_id 0
		.amdhsa_next_free_vgpr 8
		.amdhsa_next_free_sgpr 20
		.amdhsa_named_barrier_count 0
		.amdhsa_reserve_vcc 1
		.amdhsa_float_round_mode_32 0
		.amdhsa_float_round_mode_16_64 0
		.amdhsa_float_denorm_mode_32 3
		.amdhsa_float_denorm_mode_16_64 3
		.amdhsa_fp16_overflow 0
		.amdhsa_memory_ordered 1
		.amdhsa_forward_progress 1
		.amdhsa_inst_pref_size 8
		.amdhsa_round_robin_scheduling 0
		.amdhsa_exception_fp_ieee_invalid_op 0
		.amdhsa_exception_fp_denorm_src 0
		.amdhsa_exception_fp_ieee_div_zero 0
		.amdhsa_exception_fp_ieee_overflow 0
		.amdhsa_exception_fp_ieee_underflow 0
		.amdhsa_exception_fp_ieee_inexact 0
		.amdhsa_exception_int_div_zero 0
	.end_amdhsa_kernel
	.section	.text._ZN9rocsparseL22gebsrmvn_mxn_16_kernelILj128ELj16ELj8EfEEvi20rocsparse_direction_NS_24const_host_device_scalarIT2_EEPKiS6_PKS3_iiS8_S4_PS3_21rocsparse_index_base_b,"axG",@progbits,_ZN9rocsparseL22gebsrmvn_mxn_16_kernelILj128ELj16ELj8EfEEvi20rocsparse_direction_NS_24const_host_device_scalarIT2_EEPKiS6_PKS3_iiS8_S4_PS3_21rocsparse_index_base_b,comdat
.Lfunc_end33:
	.size	_ZN9rocsparseL22gebsrmvn_mxn_16_kernelILj128ELj16ELj8EfEEvi20rocsparse_direction_NS_24const_host_device_scalarIT2_EEPKiS6_PKS3_iiS8_S4_PS3_21rocsparse_index_base_b, .Lfunc_end33-_ZN9rocsparseL22gebsrmvn_mxn_16_kernelILj128ELj16ELj8EfEEvi20rocsparse_direction_NS_24const_host_device_scalarIT2_EEPKiS6_PKS3_iiS8_S4_PS3_21rocsparse_index_base_b
                                        ; -- End function
	.set _ZN9rocsparseL22gebsrmvn_mxn_16_kernelILj128ELj16ELj8EfEEvi20rocsparse_direction_NS_24const_host_device_scalarIT2_EEPKiS6_PKS3_iiS8_S4_PS3_21rocsparse_index_base_b.num_vgpr, 8
	.set _ZN9rocsparseL22gebsrmvn_mxn_16_kernelILj128ELj16ELj8EfEEvi20rocsparse_direction_NS_24const_host_device_scalarIT2_EEPKiS6_PKS3_iiS8_S4_PS3_21rocsparse_index_base_b.num_agpr, 0
	.set _ZN9rocsparseL22gebsrmvn_mxn_16_kernelILj128ELj16ELj8EfEEvi20rocsparse_direction_NS_24const_host_device_scalarIT2_EEPKiS6_PKS3_iiS8_S4_PS3_21rocsparse_index_base_b.numbered_sgpr, 20
	.set _ZN9rocsparseL22gebsrmvn_mxn_16_kernelILj128ELj16ELj8EfEEvi20rocsparse_direction_NS_24const_host_device_scalarIT2_EEPKiS6_PKS3_iiS8_S4_PS3_21rocsparse_index_base_b.num_named_barrier, 0
	.set _ZN9rocsparseL22gebsrmvn_mxn_16_kernelILj128ELj16ELj8EfEEvi20rocsparse_direction_NS_24const_host_device_scalarIT2_EEPKiS6_PKS3_iiS8_S4_PS3_21rocsparse_index_base_b.private_seg_size, 0
	.set _ZN9rocsparseL22gebsrmvn_mxn_16_kernelILj128ELj16ELj8EfEEvi20rocsparse_direction_NS_24const_host_device_scalarIT2_EEPKiS6_PKS3_iiS8_S4_PS3_21rocsparse_index_base_b.uses_vcc, 1
	.set _ZN9rocsparseL22gebsrmvn_mxn_16_kernelILj128ELj16ELj8EfEEvi20rocsparse_direction_NS_24const_host_device_scalarIT2_EEPKiS6_PKS3_iiS8_S4_PS3_21rocsparse_index_base_b.uses_flat_scratch, 0
	.set _ZN9rocsparseL22gebsrmvn_mxn_16_kernelILj128ELj16ELj8EfEEvi20rocsparse_direction_NS_24const_host_device_scalarIT2_EEPKiS6_PKS3_iiS8_S4_PS3_21rocsparse_index_base_b.has_dyn_sized_stack, 0
	.set _ZN9rocsparseL22gebsrmvn_mxn_16_kernelILj128ELj16ELj8EfEEvi20rocsparse_direction_NS_24const_host_device_scalarIT2_EEPKiS6_PKS3_iiS8_S4_PS3_21rocsparse_index_base_b.has_recursion, 0
	.set _ZN9rocsparseL22gebsrmvn_mxn_16_kernelILj128ELj16ELj8EfEEvi20rocsparse_direction_NS_24const_host_device_scalarIT2_EEPKiS6_PKS3_iiS8_S4_PS3_21rocsparse_index_base_b.has_indirect_call, 0
	.section	.AMDGPU.csdata,"",@progbits
; Kernel info:
; codeLenInByte = 952
; TotalNumSgprs: 22
; NumVgprs: 8
; ScratchSize: 0
; MemoryBound: 0
; FloatMode: 240
; IeeeMode: 1
; LDSByteSize: 512 bytes/workgroup (compile time only)
; SGPRBlocks: 0
; VGPRBlocks: 0
; NumSGPRsForWavesPerEU: 22
; NumVGPRsForWavesPerEU: 8
; NamedBarCnt: 0
; Occupancy: 16
; WaveLimiterHint : 1
; COMPUTE_PGM_RSRC2:SCRATCH_EN: 0
; COMPUTE_PGM_RSRC2:USER_SGPR: 2
; COMPUTE_PGM_RSRC2:TRAP_HANDLER: 0
; COMPUTE_PGM_RSRC2:TGID_X_EN: 1
; COMPUTE_PGM_RSRC2:TGID_Y_EN: 0
; COMPUTE_PGM_RSRC2:TGID_Z_EN: 0
; COMPUTE_PGM_RSRC2:TIDIG_COMP_CNT: 0
	.section	.text._ZN9rocsparseL22gebsrmvn_mxn_16_kernelILj52ELj13ELj1EdEEvi20rocsparse_direction_NS_24const_host_device_scalarIT2_EEPKiS6_PKS3_iiS8_S4_PS3_21rocsparse_index_base_b,"axG",@progbits,_ZN9rocsparseL22gebsrmvn_mxn_16_kernelILj52ELj13ELj1EdEEvi20rocsparse_direction_NS_24const_host_device_scalarIT2_EEPKiS6_PKS3_iiS8_S4_PS3_21rocsparse_index_base_b,comdat
	.globl	_ZN9rocsparseL22gebsrmvn_mxn_16_kernelILj52ELj13ELj1EdEEvi20rocsparse_direction_NS_24const_host_device_scalarIT2_EEPKiS6_PKS3_iiS8_S4_PS3_21rocsparse_index_base_b ; -- Begin function _ZN9rocsparseL22gebsrmvn_mxn_16_kernelILj52ELj13ELj1EdEEvi20rocsparse_direction_NS_24const_host_device_scalarIT2_EEPKiS6_PKS3_iiS8_S4_PS3_21rocsparse_index_base_b
	.p2align	8
	.type	_ZN9rocsparseL22gebsrmvn_mxn_16_kernelILj52ELj13ELj1EdEEvi20rocsparse_direction_NS_24const_host_device_scalarIT2_EEPKiS6_PKS3_iiS8_S4_PS3_21rocsparse_index_base_b,@function
_ZN9rocsparseL22gebsrmvn_mxn_16_kernelILj52ELj13ELj1EdEEvi20rocsparse_direction_NS_24const_host_device_scalarIT2_EEPKiS6_PKS3_iiS8_S4_PS3_21rocsparse_index_base_b: ; @_ZN9rocsparseL22gebsrmvn_mxn_16_kernelILj52ELj13ELj1EdEEvi20rocsparse_direction_NS_24const_host_device_scalarIT2_EEPKiS6_PKS3_iiS8_S4_PS3_21rocsparse_index_base_b
; %bb.0:
	s_clause 0x2
	s_load_b64 s[10:11], s[0:1], 0x48
	s_load_b64 s[4:5], s[0:1], 0x8
	;; [unrolled: 1-line block ×3, first 2 shown]
	s_wait_kmcnt 0x0
	s_bitcmp1_b32 s11, 0
	v_mov_b64_e32 v[4:5], s[4:5]
	s_cselect_b32 s6, -1, 0
	s_delay_alu instid0(SALU_CYCLE_1)
	s_and_b32 vcc_lo, exec_lo, s6
	s_xor_b32 s6, s6, -1
	s_cbranch_vccnz .LBB34_2
; %bb.1:
	v_mov_b32_e32 v1, 0
	flat_load_b64 v[4:5], v1, s[4:5]
.LBB34_2:
	v_mov_b64_e32 v[2:3], s[2:3]
	s_and_not1_b32 vcc_lo, exec_lo, s6
	s_cbranch_vccnz .LBB34_4
; %bb.3:
	s_wait_xcnt 0x0
	v_mov_b32_e32 v1, 0
	flat_load_b64 v[2:3], v1, s[2:3]
.LBB34_4:
	s_wait_loadcnt_dscnt 0x0
	v_cmp_neq_f64_e32 vcc_lo, 0, v[4:5]
	s_delay_alu instid0(VALU_DEP_2) | instskip(SKIP_1) | instid1(SALU_CYCLE_1)
	v_cmp_neq_f64_e64 s2, 1.0, v[2:3]
	s_or_b32 s2, vcc_lo, s2
	s_and_saveexec_b32 s3, s2
	s_cbranch_execz .LBB34_21
; %bb.5:
	s_load_b64 s[2:3], s[0:1], 0x10
	s_bfe_u32 s4, ttmp6, 0x4000c
	s_and_b32 s5, ttmp6, 15
	s_add_co_i32 s4, s4, 1
	s_getreg_b32 s6, hwreg(HW_REG_IB_STS2, 6, 4)
	s_mul_i32 s4, ttmp9, s4
	s_delay_alu instid0(SALU_CYCLE_1) | instskip(SKIP_2) | instid1(SALU_CYCLE_1)
	s_add_co_i32 s5, s5, s4
	s_cmp_eq_u32 s6, 0
	s_cselect_b32 s8, ttmp9, s5
	s_ashr_i32 s9, s8, 31
	s_delay_alu instid0(SALU_CYCLE_1)
	s_lshl_b64 s[4:5], s[8:9], 2
	s_wait_kmcnt 0x0
	s_add_nc_u64 s[2:3], s[2:3], s[4:5]
	s_mov_b32 s4, 0
	s_load_b64 s[14:15], s[2:3], 0x0
	s_wait_kmcnt 0x0
	s_cmp_lt_i32 s14, s15
	s_cbranch_scc0 .LBB34_7
; %bb.6:
	s_mov_b32 s4, -1
.LBB34_7:
	s_load_b64 s[2:3], s[0:1], 0x40
	v_mov_b64_e32 v[6:7], 0
	s_and_not1_b32 vcc_lo, exec_lo, s4
	s_cbranch_vccnz .LBB34_12
; %bb.8:
	s_clause 0x1
	s_load_b128 s[4:7], s[0:1], 0x18
	s_load_b64 s[12:13], s[0:1], 0x30
	v_mad_u32 v8, s14, 13, v0
	v_mul_u32_u24_e32 v1, 0x13b2, v0
	s_wait_xcnt 0x0
	s_mul_i32 s0, s10, 13
	v_mov_b64_e32 v[6:7], 0
	s_sub_co_i32 s1, s14, s10
	v_lshrrev_b32_e32 v1, 16, v1
	s_delay_alu instid0(VALU_DEP_4)
	v_subrev_nc_u32_e32 v8, s0, v8
	s_sub_co_i32 s0, s15, s10
	s_branch .LBB34_10
.LBB34_9:                               ;   in Loop: Header=BB34_10 Depth=1
	s_or_b32 exec_lo, exec_lo, s9
	v_add_nc_u32_e32 v8, 52, v8
	s_add_co_i32 s1, s1, 4
	s_delay_alu instid0(SALU_CYCLE_1)
	s_cmp_ge_i32 s1, s0
	s_cbranch_scc1 .LBB34_12
.LBB34_10:                              ; =>This Inner Loop Header: Depth=1
	s_delay_alu instid0(VALU_DEP_2) | instskip(SKIP_1) | instid1(VALU_DEP_1)
	v_add_nc_u32_e32 v9, s1, v1
	s_mov_b32 s9, exec_lo
	v_cmpx_gt_i32_e64 s0, v9
	s_cbranch_execz .LBB34_9
; %bb.11:                               ;   in Loop: Header=BB34_10 Depth=1
	s_wait_kmcnt 0x0
	global_load_b32 v9, v9, s[4:5] scale_offset
	s_wait_loadcnt 0x0
	v_subrev_nc_u32_e32 v9, s10, v9
	global_load_b64 v[10:11], v8, s[6:7] scale_offset
	global_load_b64 v[12:13], v9, s[12:13] scale_offset
	s_wait_loadcnt 0x0
	v_fmac_f64_e32 v[6:7], v[10:11], v[12:13]
	s_branch .LBB34_9
.LBB34_12:
	v_lshlrev_b32_e32 v1, 3, v0
	s_wait_xcnt 0x0
	s_mov_b32 s0, exec_lo
	ds_store_b64 v1, v[6:7]
	s_wait_dscnt 0x0
	s_barrier_signal -1
	s_barrier_wait -1
	v_cmpx_gt_u32_e32 26, v0
	s_cbranch_execz .LBB34_14
; %bb.13:
	ds_load_2addr_b64 v[6:9], v1 offset1:26
	s_wait_dscnt 0x0
	v_add_f64_e32 v[6:7], v[8:9], v[6:7]
	ds_store_b64 v1, v[6:7]
.LBB34_14:
	s_or_b32 exec_lo, exec_lo, s0
	v_cmp_gt_u32_e32 vcc_lo, 13, v0
	s_wait_dscnt 0x0
	s_barrier_signal -1
	s_barrier_wait -1
	s_and_saveexec_b32 s0, vcc_lo
	s_cbranch_execz .LBB34_16
; %bb.15:
	ds_load_2addr_b64 v[6:9], v1 offset1:13
	s_wait_dscnt 0x0
	v_add_f64_e32 v[6:7], v[8:9], v[6:7]
	ds_store_b64 v1, v[6:7]
.LBB34_16:
	s_or_b32 exec_lo, exec_lo, s0
	s_wait_dscnt 0x0
	s_barrier_signal -1
	s_barrier_wait -1
	s_and_b32 exec_lo, exec_lo, vcc_lo
	s_cbranch_execz .LBB34_21
; %bb.17:
	ds_load_b64 v[6:7], v1
	v_mad_u32 v0, s8, 13, v0
	s_mov_b32 s0, exec_lo
	s_wait_dscnt 0x0
	v_mul_f64_e32 v[4:5], v[4:5], v[6:7]
	v_cmpx_eq_f64_e32 0, v[2:3]
	s_xor_b32 s0, exec_lo, s0
	s_cbranch_execz .LBB34_19
; %bb.18:
	s_wait_kmcnt 0x0
	global_store_b64 v0, v[4:5], s[2:3] scale_offset
                                        ; implicit-def: $vgpr0
                                        ; implicit-def: $vgpr2_vgpr3
                                        ; implicit-def: $vgpr4_vgpr5
.LBB34_19:
	s_wait_xcnt 0x0
	s_and_not1_saveexec_b32 s0, s0
	s_cbranch_execz .LBB34_21
; %bb.20:
	s_wait_kmcnt 0x0
	global_load_b64 v[6:7], v0, s[2:3] scale_offset
	s_wait_loadcnt 0x0
	v_fmac_f64_e32 v[4:5], v[2:3], v[6:7]
	global_store_b64 v0, v[4:5], s[2:3] scale_offset
.LBB34_21:
	s_endpgm
	.section	.rodata,"a",@progbits
	.p2align	6, 0x0
	.amdhsa_kernel _ZN9rocsparseL22gebsrmvn_mxn_16_kernelILj52ELj13ELj1EdEEvi20rocsparse_direction_NS_24const_host_device_scalarIT2_EEPKiS6_PKS3_iiS8_S4_PS3_21rocsparse_index_base_b
		.amdhsa_group_segment_fixed_size 416
		.amdhsa_private_segment_fixed_size 0
		.amdhsa_kernarg_size 80
		.amdhsa_user_sgpr_count 2
		.amdhsa_user_sgpr_dispatch_ptr 0
		.amdhsa_user_sgpr_queue_ptr 0
		.amdhsa_user_sgpr_kernarg_segment_ptr 1
		.amdhsa_user_sgpr_dispatch_id 0
		.amdhsa_user_sgpr_kernarg_preload_length 0
		.amdhsa_user_sgpr_kernarg_preload_offset 0
		.amdhsa_user_sgpr_private_segment_size 0
		.amdhsa_wavefront_size32 1
		.amdhsa_uses_dynamic_stack 0
		.amdhsa_enable_private_segment 0
		.amdhsa_system_sgpr_workgroup_id_x 1
		.amdhsa_system_sgpr_workgroup_id_y 0
		.amdhsa_system_sgpr_workgroup_id_z 0
		.amdhsa_system_sgpr_workgroup_info 0
		.amdhsa_system_vgpr_workitem_id 0
		.amdhsa_next_free_vgpr 14
		.amdhsa_next_free_sgpr 16
		.amdhsa_named_barrier_count 0
		.amdhsa_reserve_vcc 1
		.amdhsa_float_round_mode_32 0
		.amdhsa_float_round_mode_16_64 0
		.amdhsa_float_denorm_mode_32 3
		.amdhsa_float_denorm_mode_16_64 3
		.amdhsa_fp16_overflow 0
		.amdhsa_memory_ordered 1
		.amdhsa_forward_progress 1
		.amdhsa_inst_pref_size 6
		.amdhsa_round_robin_scheduling 0
		.amdhsa_exception_fp_ieee_invalid_op 0
		.amdhsa_exception_fp_denorm_src 0
		.amdhsa_exception_fp_ieee_div_zero 0
		.amdhsa_exception_fp_ieee_overflow 0
		.amdhsa_exception_fp_ieee_underflow 0
		.amdhsa_exception_fp_ieee_inexact 0
		.amdhsa_exception_int_div_zero 0
	.end_amdhsa_kernel
	.section	.text._ZN9rocsparseL22gebsrmvn_mxn_16_kernelILj52ELj13ELj1EdEEvi20rocsparse_direction_NS_24const_host_device_scalarIT2_EEPKiS6_PKS3_iiS8_S4_PS3_21rocsparse_index_base_b,"axG",@progbits,_ZN9rocsparseL22gebsrmvn_mxn_16_kernelILj52ELj13ELj1EdEEvi20rocsparse_direction_NS_24const_host_device_scalarIT2_EEPKiS6_PKS3_iiS8_S4_PS3_21rocsparse_index_base_b,comdat
.Lfunc_end34:
	.size	_ZN9rocsparseL22gebsrmvn_mxn_16_kernelILj52ELj13ELj1EdEEvi20rocsparse_direction_NS_24const_host_device_scalarIT2_EEPKiS6_PKS3_iiS8_S4_PS3_21rocsparse_index_base_b, .Lfunc_end34-_ZN9rocsparseL22gebsrmvn_mxn_16_kernelILj52ELj13ELj1EdEEvi20rocsparse_direction_NS_24const_host_device_scalarIT2_EEPKiS6_PKS3_iiS8_S4_PS3_21rocsparse_index_base_b
                                        ; -- End function
	.set _ZN9rocsparseL22gebsrmvn_mxn_16_kernelILj52ELj13ELj1EdEEvi20rocsparse_direction_NS_24const_host_device_scalarIT2_EEPKiS6_PKS3_iiS8_S4_PS3_21rocsparse_index_base_b.num_vgpr, 14
	.set _ZN9rocsparseL22gebsrmvn_mxn_16_kernelILj52ELj13ELj1EdEEvi20rocsparse_direction_NS_24const_host_device_scalarIT2_EEPKiS6_PKS3_iiS8_S4_PS3_21rocsparse_index_base_b.num_agpr, 0
	.set _ZN9rocsparseL22gebsrmvn_mxn_16_kernelILj52ELj13ELj1EdEEvi20rocsparse_direction_NS_24const_host_device_scalarIT2_EEPKiS6_PKS3_iiS8_S4_PS3_21rocsparse_index_base_b.numbered_sgpr, 16
	.set _ZN9rocsparseL22gebsrmvn_mxn_16_kernelILj52ELj13ELj1EdEEvi20rocsparse_direction_NS_24const_host_device_scalarIT2_EEPKiS6_PKS3_iiS8_S4_PS3_21rocsparse_index_base_b.num_named_barrier, 0
	.set _ZN9rocsparseL22gebsrmvn_mxn_16_kernelILj52ELj13ELj1EdEEvi20rocsparse_direction_NS_24const_host_device_scalarIT2_EEPKiS6_PKS3_iiS8_S4_PS3_21rocsparse_index_base_b.private_seg_size, 0
	.set _ZN9rocsparseL22gebsrmvn_mxn_16_kernelILj52ELj13ELj1EdEEvi20rocsparse_direction_NS_24const_host_device_scalarIT2_EEPKiS6_PKS3_iiS8_S4_PS3_21rocsparse_index_base_b.uses_vcc, 1
	.set _ZN9rocsparseL22gebsrmvn_mxn_16_kernelILj52ELj13ELj1EdEEvi20rocsparse_direction_NS_24const_host_device_scalarIT2_EEPKiS6_PKS3_iiS8_S4_PS3_21rocsparse_index_base_b.uses_flat_scratch, 0
	.set _ZN9rocsparseL22gebsrmvn_mxn_16_kernelILj52ELj13ELj1EdEEvi20rocsparse_direction_NS_24const_host_device_scalarIT2_EEPKiS6_PKS3_iiS8_S4_PS3_21rocsparse_index_base_b.has_dyn_sized_stack, 0
	.set _ZN9rocsparseL22gebsrmvn_mxn_16_kernelILj52ELj13ELj1EdEEvi20rocsparse_direction_NS_24const_host_device_scalarIT2_EEPKiS6_PKS3_iiS8_S4_PS3_21rocsparse_index_base_b.has_recursion, 0
	.set _ZN9rocsparseL22gebsrmvn_mxn_16_kernelILj52ELj13ELj1EdEEvi20rocsparse_direction_NS_24const_host_device_scalarIT2_EEPKiS6_PKS3_iiS8_S4_PS3_21rocsparse_index_base_b.has_indirect_call, 0
	.section	.AMDGPU.csdata,"",@progbits
; Kernel info:
; codeLenInByte = 684
; TotalNumSgprs: 18
; NumVgprs: 14
; ScratchSize: 0
; MemoryBound: 0
; FloatMode: 240
; IeeeMode: 1
; LDSByteSize: 416 bytes/workgroup (compile time only)
; SGPRBlocks: 0
; VGPRBlocks: 0
; NumSGPRsForWavesPerEU: 18
; NumVGPRsForWavesPerEU: 14
; NamedBarCnt: 0
; Occupancy: 16
; WaveLimiterHint : 1
; COMPUTE_PGM_RSRC2:SCRATCH_EN: 0
; COMPUTE_PGM_RSRC2:USER_SGPR: 2
; COMPUTE_PGM_RSRC2:TRAP_HANDLER: 0
; COMPUTE_PGM_RSRC2:TGID_X_EN: 1
; COMPUTE_PGM_RSRC2:TGID_Y_EN: 0
; COMPUTE_PGM_RSRC2:TGID_Z_EN: 0
; COMPUTE_PGM_RSRC2:TIDIG_COMP_CNT: 0
	.section	.text._ZN9rocsparseL22gebsrmvn_mxn_16_kernelILj52ELj13ELj2EdEEvi20rocsparse_direction_NS_24const_host_device_scalarIT2_EEPKiS6_PKS3_iiS8_S4_PS3_21rocsparse_index_base_b,"axG",@progbits,_ZN9rocsparseL22gebsrmvn_mxn_16_kernelILj52ELj13ELj2EdEEvi20rocsparse_direction_NS_24const_host_device_scalarIT2_EEPKiS6_PKS3_iiS8_S4_PS3_21rocsparse_index_base_b,comdat
	.globl	_ZN9rocsparseL22gebsrmvn_mxn_16_kernelILj52ELj13ELj2EdEEvi20rocsparse_direction_NS_24const_host_device_scalarIT2_EEPKiS6_PKS3_iiS8_S4_PS3_21rocsparse_index_base_b ; -- Begin function _ZN9rocsparseL22gebsrmvn_mxn_16_kernelILj52ELj13ELj2EdEEvi20rocsparse_direction_NS_24const_host_device_scalarIT2_EEPKiS6_PKS3_iiS8_S4_PS3_21rocsparse_index_base_b
	.p2align	8
	.type	_ZN9rocsparseL22gebsrmvn_mxn_16_kernelILj52ELj13ELj2EdEEvi20rocsparse_direction_NS_24const_host_device_scalarIT2_EEPKiS6_PKS3_iiS8_S4_PS3_21rocsparse_index_base_b,@function
_ZN9rocsparseL22gebsrmvn_mxn_16_kernelILj52ELj13ELj2EdEEvi20rocsparse_direction_NS_24const_host_device_scalarIT2_EEPKiS6_PKS3_iiS8_S4_PS3_21rocsparse_index_base_b: ; @_ZN9rocsparseL22gebsrmvn_mxn_16_kernelILj52ELj13ELj2EdEEvi20rocsparse_direction_NS_24const_host_device_scalarIT2_EEPKiS6_PKS3_iiS8_S4_PS3_21rocsparse_index_base_b
; %bb.0:
	s_clause 0x2
	s_load_b64 s[10:11], s[0:1], 0x48
	s_load_b64 s[4:5], s[0:1], 0x8
	;; [unrolled: 1-line block ×3, first 2 shown]
	s_wait_kmcnt 0x0
	s_bitcmp1_b32 s11, 0
	v_mov_b64_e32 v[4:5], s[4:5]
	s_cselect_b32 s6, -1, 0
	s_delay_alu instid0(SALU_CYCLE_1)
	s_and_b32 vcc_lo, exec_lo, s6
	s_xor_b32 s6, s6, -1
	s_cbranch_vccnz .LBB35_2
; %bb.1:
	v_mov_b32_e32 v1, 0
	flat_load_b64 v[4:5], v1, s[4:5]
.LBB35_2:
	v_mov_b64_e32 v[2:3], s[2:3]
	s_and_not1_b32 vcc_lo, exec_lo, s6
	s_cbranch_vccnz .LBB35_4
; %bb.3:
	s_wait_xcnt 0x0
	v_mov_b32_e32 v1, 0
	flat_load_b64 v[2:3], v1, s[2:3]
.LBB35_4:
	s_wait_loadcnt_dscnt 0x0
	v_cmp_neq_f64_e32 vcc_lo, 0, v[4:5]
	s_delay_alu instid0(VALU_DEP_2) | instskip(SKIP_1) | instid1(SALU_CYCLE_1)
	v_cmp_neq_f64_e64 s2, 1.0, v[2:3]
	s_or_b32 s2, vcc_lo, s2
	s_and_saveexec_b32 s3, s2
	s_cbranch_execz .LBB35_31
; %bb.5:
	s_clause 0x1
	s_load_b32 s4, s[0:1], 0x4
	s_load_b64 s[2:3], s[0:1], 0x10
	v_and_b32_e32 v1, 1, v0
	s_delay_alu instid0(VALU_DEP_1) | instskip(SKIP_3) | instid1(SALU_CYCLE_1)
	v_mov_b32_e32 v8, v1
	s_wait_kmcnt 0x0
	s_cmp_lg_u32 s4, 1
	s_cselect_b32 s11, -1, 0
	s_and_b32 vcc_lo, exec_lo, s11
	s_cbranch_vccnz .LBB35_7
; %bb.6:
	v_mul_u32_u24_e32 v6, 0x13b2, v0
	s_delay_alu instid0(VALU_DEP_1)
	v_bfe_u32 v8, v6, 16, 1
.LBB35_7:
	s_bfe_u32 s4, ttmp6, 0x4000c
	s_and_b32 s5, ttmp6, 15
	s_add_co_i32 s4, s4, 1
	s_getreg_b32 s6, hwreg(HW_REG_IB_STS2, 6, 4)
	s_mul_i32 s4, ttmp9, s4
	v_mov_b64_e32 v[6:7], 0
	s_add_co_i32 s5, s5, s4
	s_cmp_eq_u32 s6, 0
	s_cselect_b32 s8, ttmp9, s5
	s_delay_alu instid0(SALU_CYCLE_1) | instskip(NEXT) | instid1(SALU_CYCLE_1)
	s_ashr_i32 s9, s8, 31
	s_lshl_b64 s[4:5], s[8:9], 2
	s_delay_alu instid0(SALU_CYCLE_1)
	s_add_nc_u64 s[4:5], s[2:3], s[4:5]
	s_load_b64 s[14:15], s[4:5], 0x0
	s_load_b64 s[2:3], s[0:1], 0x40
	s_wait_kmcnt 0x0
	s_cmp_ge_i32 s14, s15
	s_cbranch_scc1 .LBB35_12
; %bb.8:
	s_clause 0x1
	s_load_b128 s[4:7], s[0:1], 0x18
	s_load_b64 s[12:13], s[0:1], 0x30
	v_mad_u32 v10, s14, 26, v0
	v_mul_u32_u24_e32 v9, 0x9d9, v0
	s_wait_xcnt 0x0
	s_mul_i32 s0, s10, 26
	v_mov_b64_e32 v[6:7], 0
	s_sub_co_i32 s1, s14, s10
	v_lshrrev_b32_e32 v9, 16, v9
	s_delay_alu instid0(VALU_DEP_4)
	v_subrev_nc_u32_e32 v10, s0, v10
	s_sub_co_i32 s0, s15, s10
	s_branch .LBB35_10
.LBB35_9:                               ;   in Loop: Header=BB35_10 Depth=1
	s_or_b32 exec_lo, exec_lo, s9
	v_add_nc_u32_e32 v10, 52, v10
	s_add_co_i32 s1, s1, 2
	s_delay_alu instid0(SALU_CYCLE_1)
	s_cmp_ge_i32 s1, s0
	s_cbranch_scc1 .LBB35_12
.LBB35_10:                              ; =>This Inner Loop Header: Depth=1
	s_delay_alu instid0(VALU_DEP_2) | instskip(SKIP_1) | instid1(VALU_DEP_1)
	v_add_nc_u32_e32 v11, s1, v9
	s_mov_b32 s9, exec_lo
	v_cmpx_gt_i32_e64 s0, v11
	s_cbranch_execz .LBB35_9
; %bb.11:                               ;   in Loop: Header=BB35_10 Depth=1
	s_wait_kmcnt 0x0
	global_load_b32 v11, v11, s[4:5] scale_offset
	s_wait_loadcnt 0x0
	v_subrev_nc_u32_e32 v11, s10, v11
	s_delay_alu instid0(VALU_DEP_1)
	v_lshl_or_b32 v11, v11, 1, v8
	global_load_b64 v[12:13], v10, s[6:7] scale_offset
	global_load_b64 v[14:15], v11, s[12:13] scale_offset
	s_wait_loadcnt 0x0
	v_fmac_f64_e32 v[6:7], v[12:13], v[14:15]
	s_branch .LBB35_9
.LBB35_12:
	v_lshlrev_b32_e32 v10, 3, v0
	s_mov_b32 s0, exec_lo
	ds_store_b64 v10, v[6:7]
	s_wait_dscnt 0x0
	s_barrier_signal -1
	s_barrier_wait -1
	v_cmpx_gt_u32_e32 26, v0
	s_cbranch_execz .LBB35_14
; %bb.13:
	ds_load_2addr_b64 v[12:15], v10 offset1:26
	s_wait_dscnt 0x0
	v_add_f64_e32 v[8:9], v[14:15], v[12:13]
	ds_store_b64 v10, v[8:9]
.LBB35_14:
	s_or_b32 exec_lo, exec_lo, s0
	s_delay_alu instid0(SALU_CYCLE_1)
	s_and_b32 vcc_lo, exec_lo, s11
	s_wait_dscnt 0x0
	s_barrier_signal -1
	s_barrier_wait -1
	s_cbranch_vccz .LBB35_20
; %bb.15:
	s_mov_b32 s0, exec_lo
	v_cmpx_eq_u32_e32 0, v1
	s_cbranch_execz .LBB35_17
; %bb.16:
	ds_load_2addr_b64 v[12:15], v10 offset1:1
	s_wait_dscnt 0x0
	v_add_f64_e32 v[8:9], v[14:15], v[12:13]
	ds_store_b64 v10, v[8:9]
.LBB35_17:
	s_or_b32 exec_lo, exec_lo, s0
	v_mov_b64_e32 v[8:9], v[6:7]
	s_mov_b32 s0, exec_lo
	s_wait_dscnt 0x0
	s_barrier_signal -1
	s_barrier_wait -1
	v_cmpx_gt_u32_e32 13, v0
; %bb.18:
	v_lshl_add_u32 v1, v0, 3, v10
	ds_load_b64 v[8:9], v1
; %bb.19:
	s_or_b32 exec_lo, exec_lo, s0
	s_branch .LBB35_26
.LBB35_20:
                                        ; implicit-def: $vgpr8_vgpr9
	s_cbranch_execz .LBB35_26
; %bb.21:
	s_mov_b32 s0, exec_lo
	v_cmpx_lt_u32_e32 12, v0
	s_xor_b32 s0, exec_lo, s0
	s_cbranch_execz .LBB35_23
; %bb.22:
	s_wait_dscnt 0x0
                                        ; implicit-def: $vgpr10
.LBB35_23:
	s_and_not1_saveexec_b32 s0, s0
	s_cbranch_execz .LBB35_25
; %bb.24:
	s_wait_dscnt 0x0
	ds_load_2addr_b64 v[6:9], v10 offset1:13
	s_wait_dscnt 0x0
	v_add_f64_e32 v[6:7], v[8:9], v[6:7]
	ds_store_b64 v10, v[6:7]
	s_wait_dscnt 0x0
	ds_load_b64 v[6:7], v10
.LBB35_25:
	s_or_b32 exec_lo, exec_lo, s0
	s_wait_dscnt 0x0
	v_mov_b64_e32 v[8:9], v[6:7]
.LBB35_26:
	v_cmp_gt_u32_e32 vcc_lo, 13, v0
	s_and_b32 exec_lo, exec_lo, vcc_lo
	s_cbranch_execz .LBB35_31
; %bb.27:
	s_wait_dscnt 0x0
	s_delay_alu instid0(VALU_DEP_2)
	v_mul_f64_e32 v[4:5], v[4:5], v[8:9]
	v_mad_u32 v0, s8, 13, v0
	s_mov_b32 s0, exec_lo
	v_cmpx_eq_f64_e32 0, v[2:3]
	s_xor_b32 s0, exec_lo, s0
	s_cbranch_execz .LBB35_29
; %bb.28:
	global_store_b64 v0, v[4:5], s[2:3] scale_offset
                                        ; implicit-def: $vgpr0
                                        ; implicit-def: $vgpr2_vgpr3
                                        ; implicit-def: $vgpr4_vgpr5
.LBB35_29:
	s_wait_xcnt 0x0
	s_and_not1_saveexec_b32 s0, s0
	s_cbranch_execz .LBB35_31
; %bb.30:
	global_load_b64 v[6:7], v0, s[2:3] scale_offset
	s_wait_loadcnt 0x0
	v_fmac_f64_e32 v[4:5], v[2:3], v[6:7]
	global_store_b64 v0, v[4:5], s[2:3] scale_offset
.LBB35_31:
	s_endpgm
	.section	.rodata,"a",@progbits
	.p2align	6, 0x0
	.amdhsa_kernel _ZN9rocsparseL22gebsrmvn_mxn_16_kernelILj52ELj13ELj2EdEEvi20rocsparse_direction_NS_24const_host_device_scalarIT2_EEPKiS6_PKS3_iiS8_S4_PS3_21rocsparse_index_base_b
		.amdhsa_group_segment_fixed_size 416
		.amdhsa_private_segment_fixed_size 0
		.amdhsa_kernarg_size 80
		.amdhsa_user_sgpr_count 2
		.amdhsa_user_sgpr_dispatch_ptr 0
		.amdhsa_user_sgpr_queue_ptr 0
		.amdhsa_user_sgpr_kernarg_segment_ptr 1
		.amdhsa_user_sgpr_dispatch_id 0
		.amdhsa_user_sgpr_kernarg_preload_length 0
		.amdhsa_user_sgpr_kernarg_preload_offset 0
		.amdhsa_user_sgpr_private_segment_size 0
		.amdhsa_wavefront_size32 1
		.amdhsa_uses_dynamic_stack 0
		.amdhsa_enable_private_segment 0
		.amdhsa_system_sgpr_workgroup_id_x 1
		.amdhsa_system_sgpr_workgroup_id_y 0
		.amdhsa_system_sgpr_workgroup_id_z 0
		.amdhsa_system_sgpr_workgroup_info 0
		.amdhsa_system_vgpr_workitem_id 0
		.amdhsa_next_free_vgpr 16
		.amdhsa_next_free_sgpr 16
		.amdhsa_named_barrier_count 0
		.amdhsa_reserve_vcc 1
		.amdhsa_float_round_mode_32 0
		.amdhsa_float_round_mode_16_64 0
		.amdhsa_float_denorm_mode_32 3
		.amdhsa_float_denorm_mode_16_64 3
		.amdhsa_fp16_overflow 0
		.amdhsa_memory_ordered 1
		.amdhsa_forward_progress 1
		.amdhsa_inst_pref_size 7
		.amdhsa_round_robin_scheduling 0
		.amdhsa_exception_fp_ieee_invalid_op 0
		.amdhsa_exception_fp_denorm_src 0
		.amdhsa_exception_fp_ieee_div_zero 0
		.amdhsa_exception_fp_ieee_overflow 0
		.amdhsa_exception_fp_ieee_underflow 0
		.amdhsa_exception_fp_ieee_inexact 0
		.amdhsa_exception_int_div_zero 0
	.end_amdhsa_kernel
	.section	.text._ZN9rocsparseL22gebsrmvn_mxn_16_kernelILj52ELj13ELj2EdEEvi20rocsparse_direction_NS_24const_host_device_scalarIT2_EEPKiS6_PKS3_iiS8_S4_PS3_21rocsparse_index_base_b,"axG",@progbits,_ZN9rocsparseL22gebsrmvn_mxn_16_kernelILj52ELj13ELj2EdEEvi20rocsparse_direction_NS_24const_host_device_scalarIT2_EEPKiS6_PKS3_iiS8_S4_PS3_21rocsparse_index_base_b,comdat
.Lfunc_end35:
	.size	_ZN9rocsparseL22gebsrmvn_mxn_16_kernelILj52ELj13ELj2EdEEvi20rocsparse_direction_NS_24const_host_device_scalarIT2_EEPKiS6_PKS3_iiS8_S4_PS3_21rocsparse_index_base_b, .Lfunc_end35-_ZN9rocsparseL22gebsrmvn_mxn_16_kernelILj52ELj13ELj2EdEEvi20rocsparse_direction_NS_24const_host_device_scalarIT2_EEPKiS6_PKS3_iiS8_S4_PS3_21rocsparse_index_base_b
                                        ; -- End function
	.set _ZN9rocsparseL22gebsrmvn_mxn_16_kernelILj52ELj13ELj2EdEEvi20rocsparse_direction_NS_24const_host_device_scalarIT2_EEPKiS6_PKS3_iiS8_S4_PS3_21rocsparse_index_base_b.num_vgpr, 16
	.set _ZN9rocsparseL22gebsrmvn_mxn_16_kernelILj52ELj13ELj2EdEEvi20rocsparse_direction_NS_24const_host_device_scalarIT2_EEPKiS6_PKS3_iiS8_S4_PS3_21rocsparse_index_base_b.num_agpr, 0
	.set _ZN9rocsparseL22gebsrmvn_mxn_16_kernelILj52ELj13ELj2EdEEvi20rocsparse_direction_NS_24const_host_device_scalarIT2_EEPKiS6_PKS3_iiS8_S4_PS3_21rocsparse_index_base_b.numbered_sgpr, 16
	.set _ZN9rocsparseL22gebsrmvn_mxn_16_kernelILj52ELj13ELj2EdEEvi20rocsparse_direction_NS_24const_host_device_scalarIT2_EEPKiS6_PKS3_iiS8_S4_PS3_21rocsparse_index_base_b.num_named_barrier, 0
	.set _ZN9rocsparseL22gebsrmvn_mxn_16_kernelILj52ELj13ELj2EdEEvi20rocsparse_direction_NS_24const_host_device_scalarIT2_EEPKiS6_PKS3_iiS8_S4_PS3_21rocsparse_index_base_b.private_seg_size, 0
	.set _ZN9rocsparseL22gebsrmvn_mxn_16_kernelILj52ELj13ELj2EdEEvi20rocsparse_direction_NS_24const_host_device_scalarIT2_EEPKiS6_PKS3_iiS8_S4_PS3_21rocsparse_index_base_b.uses_vcc, 1
	.set _ZN9rocsparseL22gebsrmvn_mxn_16_kernelILj52ELj13ELj2EdEEvi20rocsparse_direction_NS_24const_host_device_scalarIT2_EEPKiS6_PKS3_iiS8_S4_PS3_21rocsparse_index_base_b.uses_flat_scratch, 0
	.set _ZN9rocsparseL22gebsrmvn_mxn_16_kernelILj52ELj13ELj2EdEEvi20rocsparse_direction_NS_24const_host_device_scalarIT2_EEPKiS6_PKS3_iiS8_S4_PS3_21rocsparse_index_base_b.has_dyn_sized_stack, 0
	.set _ZN9rocsparseL22gebsrmvn_mxn_16_kernelILj52ELj13ELj2EdEEvi20rocsparse_direction_NS_24const_host_device_scalarIT2_EEPKiS6_PKS3_iiS8_S4_PS3_21rocsparse_index_base_b.has_recursion, 0
	.set _ZN9rocsparseL22gebsrmvn_mxn_16_kernelILj52ELj13ELj2EdEEvi20rocsparse_direction_NS_24const_host_device_scalarIT2_EEPKiS6_PKS3_iiS8_S4_PS3_21rocsparse_index_base_b.has_indirect_call, 0
	.section	.AMDGPU.csdata,"",@progbits
; Kernel info:
; codeLenInByte = 860
; TotalNumSgprs: 18
; NumVgprs: 16
; ScratchSize: 0
; MemoryBound: 0
; FloatMode: 240
; IeeeMode: 1
; LDSByteSize: 416 bytes/workgroup (compile time only)
; SGPRBlocks: 0
; VGPRBlocks: 0
; NumSGPRsForWavesPerEU: 18
; NumVGPRsForWavesPerEU: 16
; NamedBarCnt: 0
; Occupancy: 16
; WaveLimiterHint : 1
; COMPUTE_PGM_RSRC2:SCRATCH_EN: 0
; COMPUTE_PGM_RSRC2:USER_SGPR: 2
; COMPUTE_PGM_RSRC2:TRAP_HANDLER: 0
; COMPUTE_PGM_RSRC2:TGID_X_EN: 1
; COMPUTE_PGM_RSRC2:TGID_Y_EN: 0
; COMPUTE_PGM_RSRC2:TGID_Z_EN: 0
; COMPUTE_PGM_RSRC2:TIDIG_COMP_CNT: 0
	.section	.text._ZN9rocsparseL22gebsrmvn_mxn_16_kernelILj39ELj13ELj3EdEEvi20rocsparse_direction_NS_24const_host_device_scalarIT2_EEPKiS6_PKS3_iiS8_S4_PS3_21rocsparse_index_base_b,"axG",@progbits,_ZN9rocsparseL22gebsrmvn_mxn_16_kernelILj39ELj13ELj3EdEEvi20rocsparse_direction_NS_24const_host_device_scalarIT2_EEPKiS6_PKS3_iiS8_S4_PS3_21rocsparse_index_base_b,comdat
	.globl	_ZN9rocsparseL22gebsrmvn_mxn_16_kernelILj39ELj13ELj3EdEEvi20rocsparse_direction_NS_24const_host_device_scalarIT2_EEPKiS6_PKS3_iiS8_S4_PS3_21rocsparse_index_base_b ; -- Begin function _ZN9rocsparseL22gebsrmvn_mxn_16_kernelILj39ELj13ELj3EdEEvi20rocsparse_direction_NS_24const_host_device_scalarIT2_EEPKiS6_PKS3_iiS8_S4_PS3_21rocsparse_index_base_b
	.p2align	8
	.type	_ZN9rocsparseL22gebsrmvn_mxn_16_kernelILj39ELj13ELj3EdEEvi20rocsparse_direction_NS_24const_host_device_scalarIT2_EEPKiS6_PKS3_iiS8_S4_PS3_21rocsparse_index_base_b,@function
_ZN9rocsparseL22gebsrmvn_mxn_16_kernelILj39ELj13ELj3EdEEvi20rocsparse_direction_NS_24const_host_device_scalarIT2_EEPKiS6_PKS3_iiS8_S4_PS3_21rocsparse_index_base_b: ; @_ZN9rocsparseL22gebsrmvn_mxn_16_kernelILj39ELj13ELj3EdEEvi20rocsparse_direction_NS_24const_host_device_scalarIT2_EEPKiS6_PKS3_iiS8_S4_PS3_21rocsparse_index_base_b
; %bb.0:
	s_clause 0x2
	s_load_b64 s[10:11], s[0:1], 0x48
	s_load_b64 s[4:5], s[0:1], 0x8
	;; [unrolled: 1-line block ×3, first 2 shown]
	s_wait_kmcnt 0x0
	s_bitcmp1_b32 s11, 0
	v_mov_b64_e32 v[4:5], s[4:5]
	s_cselect_b32 s6, -1, 0
	s_delay_alu instid0(SALU_CYCLE_1)
	s_and_b32 vcc_lo, exec_lo, s6
	s_xor_b32 s6, s6, -1
	s_cbranch_vccnz .LBB36_2
; %bb.1:
	v_mov_b32_e32 v1, 0
	flat_load_b64 v[4:5], v1, s[4:5]
.LBB36_2:
	v_mov_b64_e32 v[2:3], s[2:3]
	s_and_not1_b32 vcc_lo, exec_lo, s6
	s_cbranch_vccnz .LBB36_4
; %bb.3:
	s_wait_xcnt 0x0
	v_mov_b32_e32 v1, 0
	flat_load_b64 v[2:3], v1, s[2:3]
.LBB36_4:
	s_wait_loadcnt_dscnt 0x0
	v_cmp_neq_f64_e32 vcc_lo, 0, v[4:5]
	s_delay_alu instid0(VALU_DEP_2) | instskip(SKIP_1) | instid1(SALU_CYCLE_1)
	v_cmp_neq_f64_e64 s2, 1.0, v[2:3]
	s_or_b32 s2, vcc_lo, s2
	s_and_saveexec_b32 s3, s2
	s_cbranch_execz .LBB36_33
; %bb.5:
	v_mul_u32_u24_e32 v1, 0x5556, v0
	s_clause 0x1
	s_load_b32 s4, s[0:1], 0x4
	s_load_b64 s[2:3], s[0:1], 0x10
	v_and_b32_e32 v9, 0xffff, v0
	v_lshrrev_b32_e32 v1, 16, v1
	s_delay_alu instid0(VALU_DEP_1) | instskip(NEXT) | instid1(VALU_DEP_1)
	v_mul_lo_u16 v1, v1, 3
	v_sub_nc_u16 v1, v0, v1
	s_delay_alu instid0(VALU_DEP_1) | instskip(SKIP_3) | instid1(SALU_CYCLE_1)
	v_and_b32_e32 v8, 0xffff, v1
	s_wait_kmcnt 0x0
	s_cmp_lg_u32 s4, 1
	s_cselect_b32 s11, -1, 0
	s_and_b32 vcc_lo, exec_lo, s11
	v_mov_b32_e32 v1, v8
	s_cbranch_vccnz .LBB36_7
; %bb.6:
	v_mul_u32_u24_e32 v1, 0x13b2, v9
	s_delay_alu instid0(VALU_DEP_1) | instskip(NEXT) | instid1(VALU_DEP_1)
	v_lshrrev_b32_e32 v1, 16, v1
	v_mul_lo_u16 v6, 0x56, v1
	s_delay_alu instid0(VALU_DEP_1) | instskip(NEXT) | instid1(VALU_DEP_1)
	v_lshrrev_b16 v6, 8, v6
	v_mul_lo_u16 v6, v6, 3
	s_delay_alu instid0(VALU_DEP_1) | instskip(NEXT) | instid1(VALU_DEP_1)
	v_sub_nc_u16 v1, v1, v6
	v_and_b32_e32 v1, 0xff, v1
.LBB36_7:
	s_bfe_u32 s4, ttmp6, 0x4000c
	s_and_b32 s5, ttmp6, 15
	s_add_co_i32 s4, s4, 1
	s_getreg_b32 s6, hwreg(HW_REG_IB_STS2, 6, 4)
	s_mul_i32 s4, ttmp9, s4
	v_mov_b64_e32 v[6:7], 0
	s_add_co_i32 s5, s5, s4
	s_cmp_eq_u32 s6, 0
	s_cselect_b32 s8, ttmp9, s5
	s_delay_alu instid0(SALU_CYCLE_1) | instskip(NEXT) | instid1(SALU_CYCLE_1)
	s_ashr_i32 s9, s8, 31
	s_lshl_b64 s[4:5], s[8:9], 2
	s_delay_alu instid0(SALU_CYCLE_1)
	s_add_nc_u64 s[4:5], s[2:3], s[4:5]
	s_load_b64 s[14:15], s[4:5], 0x0
	s_load_b64 s[2:3], s[0:1], 0x40
	s_wait_kmcnt 0x0
	s_cmp_ge_i32 s14, s15
	s_cbranch_scc1 .LBB36_12
; %bb.8:
	s_clause 0x1
	s_load_b128 s[4:7], s[0:1], 0x18
	s_load_b64 s[12:13], s[0:1], 0x30
	v_mad_u32 v10, s14, 39, v0
	v_mul_u32_u24_e32 v9, 0x691, v9
	s_wait_xcnt 0x0
	s_mul_i32 s0, s10, 39
	v_mov_b64_e32 v[6:7], 0
	s_sub_co_i32 s1, s14, s10
	v_lshrrev_b32_e32 v9, 16, v9
	s_delay_alu instid0(VALU_DEP_4)
	v_subrev_nc_u32_e32 v10, s0, v10
	s_sub_co_i32 s0, s15, s10
	s_branch .LBB36_10
.LBB36_9:                               ;   in Loop: Header=BB36_10 Depth=1
	s_or_b32 exec_lo, exec_lo, s9
	v_add_nc_u32_e32 v10, 39, v10
	s_add_co_i32 s1, s1, 1
	s_delay_alu instid0(SALU_CYCLE_1)
	s_cmp_ge_i32 s1, s0
	s_cbranch_scc1 .LBB36_12
.LBB36_10:                              ; =>This Inner Loop Header: Depth=1
	s_delay_alu instid0(VALU_DEP_2) | instskip(SKIP_1) | instid1(VALU_DEP_1)
	v_add_nc_u32_e32 v11, s1, v9
	s_mov_b32 s9, exec_lo
	v_cmpx_gt_i32_e64 s0, v11
	s_cbranch_execz .LBB36_9
; %bb.11:                               ;   in Loop: Header=BB36_10 Depth=1
	s_wait_kmcnt 0x0
	global_load_b32 v11, v11, s[4:5] scale_offset
	s_wait_loadcnt 0x0
	v_subrev_nc_u32_e32 v11, s10, v11
	s_delay_alu instid0(VALU_DEP_1)
	v_mad_u32 v11, v11, 3, v1
	global_load_b64 v[12:13], v10, s[6:7] scale_offset
	global_load_b64 v[14:15], v11, s[12:13] scale_offset
	s_wait_loadcnt 0x0
	v_fmac_f64_e32 v[6:7], v[12:13], v[14:15]
	s_branch .LBB36_9
.LBB36_12:
	v_lshlrev_b32_e32 v1, 3, v0
	s_and_b32 vcc_lo, exec_lo, s11
	ds_store_b64 v1, v[6:7]
	s_wait_dscnt 0x0
	s_barrier_signal -1
	s_barrier_wait -1
	s_cbranch_vccz .LBB36_20
; %bb.13:
	v_cmp_eq_u16_e32 vcc_lo, 0, v8
	s_and_saveexec_b32 s0, vcc_lo
	s_cbranch_execz .LBB36_15
; %bb.14:
	ds_load_2addr_b64 v[8:11], v1 offset1:2
	s_wait_dscnt 0x0
	v_add_f64_e32 v[8:9], v[10:11], v[8:9]
	ds_store_b64 v1, v[8:9]
.LBB36_15:
	s_or_b32 exec_lo, exec_lo, s0
	s_wait_dscnt 0x0
	s_barrier_signal -1
	s_barrier_wait -1
	s_and_saveexec_b32 s0, vcc_lo
	s_cbranch_execz .LBB36_17
; %bb.16:
	ds_load_2addr_b64 v[8:11], v1 offset1:1
	s_wait_dscnt 0x0
	v_add_f64_e32 v[8:9], v[10:11], v[8:9]
	ds_store_b64 v1, v[8:9]
.LBB36_17:
	s_or_b32 exec_lo, exec_lo, s0
	v_mov_b64_e32 v[8:9], v[6:7]
	s_mov_b32 s0, exec_lo
	s_wait_dscnt 0x0
	s_barrier_signal -1
	s_barrier_wait -1
	v_cmpx_gt_u32_e32 13, v0
; %bb.18:
	v_lshl_add_u32 v8, v0, 4, v1
	ds_load_b64 v[8:9], v8
; %bb.19:
	s_or_b32 exec_lo, exec_lo, s0
	v_cmp_gt_u32_e64 s0, 13, v0
	s_branch .LBB36_28
.LBB36_20:
                                        ; implicit-def: $vgpr8_vgpr9
	v_cmp_gt_u32_e64 s0, 13, v0
	s_cbranch_execz .LBB36_28
; %bb.21:
	v_cmp_lt_u32_e32 vcc_lo, 12, v0
	s_and_saveexec_b32 s1, s0
	s_cbranch_execz .LBB36_23
; %bb.22:
	s_wait_dscnt 0x0
	ds_load_2addr_b64 v[8:11], v1 offset1:26
	s_wait_dscnt 0x0
	v_add_f64_e32 v[8:9], v[10:11], v[8:9]
	ds_store_b64 v1, v[8:9]
.LBB36_23:
	s_or_b32 exec_lo, exec_lo, s1
	s_wait_dscnt 0x0
	s_barrier_signal -1
	s_barrier_wait -1
	s_and_saveexec_b32 s0, vcc_lo
	s_delay_alu instid0(SALU_CYCLE_1)
	s_xor_b32 s0, exec_lo, s0
; %bb.24:
                                        ; implicit-def: $vgpr1
; %bb.25:
	s_delay_alu instid0(SALU_CYCLE_1)
	s_and_not1_saveexec_b32 s0, s0
	s_cbranch_execz .LBB36_27
; %bb.26:
	ds_load_2addr_b64 v[6:9], v1 offset1:13
	s_wait_dscnt 0x0
	v_add_f64_e32 v[6:7], v[8:9], v[6:7]
	ds_store_b64 v1, v[6:7]
	s_wait_dscnt 0x0
	ds_load_b64 v[6:7], v1
.LBB36_27:
	s_or_b32 exec_lo, exec_lo, s0
	s_wait_dscnt 0x0
	v_mov_b64_e32 v[8:9], v[6:7]
.LBB36_28:
	v_cmp_gt_u32_e32 vcc_lo, 13, v0
	s_and_b32 exec_lo, exec_lo, vcc_lo
	s_cbranch_execz .LBB36_33
; %bb.29:
	s_wait_dscnt 0x0
	s_delay_alu instid0(VALU_DEP_2)
	v_mul_f64_e32 v[4:5], v[4:5], v[8:9]
	v_mad_u32 v0, s8, 13, v0
	s_mov_b32 s0, exec_lo
	v_cmpx_eq_f64_e32 0, v[2:3]
	s_xor_b32 s0, exec_lo, s0
	s_cbranch_execz .LBB36_31
; %bb.30:
	global_store_b64 v0, v[4:5], s[2:3] scale_offset
                                        ; implicit-def: $vgpr0
                                        ; implicit-def: $vgpr2_vgpr3
                                        ; implicit-def: $vgpr4_vgpr5
.LBB36_31:
	s_wait_xcnt 0x0
	s_and_not1_saveexec_b32 s0, s0
	s_cbranch_execz .LBB36_33
; %bb.32:
	global_load_b64 v[6:7], v0, s[2:3] scale_offset
	s_wait_loadcnt 0x0
	v_fmac_f64_e32 v[4:5], v[2:3], v[6:7]
	global_store_b64 v0, v[4:5], s[2:3] scale_offset
.LBB36_33:
	s_endpgm
	.section	.rodata,"a",@progbits
	.p2align	6, 0x0
	.amdhsa_kernel _ZN9rocsparseL22gebsrmvn_mxn_16_kernelILj39ELj13ELj3EdEEvi20rocsparse_direction_NS_24const_host_device_scalarIT2_EEPKiS6_PKS3_iiS8_S4_PS3_21rocsparse_index_base_b
		.amdhsa_group_segment_fixed_size 312
		.amdhsa_private_segment_fixed_size 0
		.amdhsa_kernarg_size 80
		.amdhsa_user_sgpr_count 2
		.amdhsa_user_sgpr_dispatch_ptr 0
		.amdhsa_user_sgpr_queue_ptr 0
		.amdhsa_user_sgpr_kernarg_segment_ptr 1
		.amdhsa_user_sgpr_dispatch_id 0
		.amdhsa_user_sgpr_kernarg_preload_length 0
		.amdhsa_user_sgpr_kernarg_preload_offset 0
		.amdhsa_user_sgpr_private_segment_size 0
		.amdhsa_wavefront_size32 1
		.amdhsa_uses_dynamic_stack 0
		.amdhsa_enable_private_segment 0
		.amdhsa_system_sgpr_workgroup_id_x 1
		.amdhsa_system_sgpr_workgroup_id_y 0
		.amdhsa_system_sgpr_workgroup_id_z 0
		.amdhsa_system_sgpr_workgroup_info 0
		.amdhsa_system_vgpr_workitem_id 0
		.amdhsa_next_free_vgpr 16
		.amdhsa_next_free_sgpr 16
		.amdhsa_named_barrier_count 0
		.amdhsa_reserve_vcc 1
		.amdhsa_float_round_mode_32 0
		.amdhsa_float_round_mode_16_64 0
		.amdhsa_float_denorm_mode_32 3
		.amdhsa_float_denorm_mode_16_64 3
		.amdhsa_fp16_overflow 0
		.amdhsa_memory_ordered 1
		.amdhsa_forward_progress 1
		.amdhsa_inst_pref_size 8
		.amdhsa_round_robin_scheduling 0
		.amdhsa_exception_fp_ieee_invalid_op 0
		.amdhsa_exception_fp_denorm_src 0
		.amdhsa_exception_fp_ieee_div_zero 0
		.amdhsa_exception_fp_ieee_overflow 0
		.amdhsa_exception_fp_ieee_underflow 0
		.amdhsa_exception_fp_ieee_inexact 0
		.amdhsa_exception_int_div_zero 0
	.end_amdhsa_kernel
	.section	.text._ZN9rocsparseL22gebsrmvn_mxn_16_kernelILj39ELj13ELj3EdEEvi20rocsparse_direction_NS_24const_host_device_scalarIT2_EEPKiS6_PKS3_iiS8_S4_PS3_21rocsparse_index_base_b,"axG",@progbits,_ZN9rocsparseL22gebsrmvn_mxn_16_kernelILj39ELj13ELj3EdEEvi20rocsparse_direction_NS_24const_host_device_scalarIT2_EEPKiS6_PKS3_iiS8_S4_PS3_21rocsparse_index_base_b,comdat
.Lfunc_end36:
	.size	_ZN9rocsparseL22gebsrmvn_mxn_16_kernelILj39ELj13ELj3EdEEvi20rocsparse_direction_NS_24const_host_device_scalarIT2_EEPKiS6_PKS3_iiS8_S4_PS3_21rocsparse_index_base_b, .Lfunc_end36-_ZN9rocsparseL22gebsrmvn_mxn_16_kernelILj39ELj13ELj3EdEEvi20rocsparse_direction_NS_24const_host_device_scalarIT2_EEPKiS6_PKS3_iiS8_S4_PS3_21rocsparse_index_base_b
                                        ; -- End function
	.set _ZN9rocsparseL22gebsrmvn_mxn_16_kernelILj39ELj13ELj3EdEEvi20rocsparse_direction_NS_24const_host_device_scalarIT2_EEPKiS6_PKS3_iiS8_S4_PS3_21rocsparse_index_base_b.num_vgpr, 16
	.set _ZN9rocsparseL22gebsrmvn_mxn_16_kernelILj39ELj13ELj3EdEEvi20rocsparse_direction_NS_24const_host_device_scalarIT2_EEPKiS6_PKS3_iiS8_S4_PS3_21rocsparse_index_base_b.num_agpr, 0
	.set _ZN9rocsparseL22gebsrmvn_mxn_16_kernelILj39ELj13ELj3EdEEvi20rocsparse_direction_NS_24const_host_device_scalarIT2_EEPKiS6_PKS3_iiS8_S4_PS3_21rocsparse_index_base_b.numbered_sgpr, 16
	.set _ZN9rocsparseL22gebsrmvn_mxn_16_kernelILj39ELj13ELj3EdEEvi20rocsparse_direction_NS_24const_host_device_scalarIT2_EEPKiS6_PKS3_iiS8_S4_PS3_21rocsparse_index_base_b.num_named_barrier, 0
	.set _ZN9rocsparseL22gebsrmvn_mxn_16_kernelILj39ELj13ELj3EdEEvi20rocsparse_direction_NS_24const_host_device_scalarIT2_EEPKiS6_PKS3_iiS8_S4_PS3_21rocsparse_index_base_b.private_seg_size, 0
	.set _ZN9rocsparseL22gebsrmvn_mxn_16_kernelILj39ELj13ELj3EdEEvi20rocsparse_direction_NS_24const_host_device_scalarIT2_EEPKiS6_PKS3_iiS8_S4_PS3_21rocsparse_index_base_b.uses_vcc, 1
	.set _ZN9rocsparseL22gebsrmvn_mxn_16_kernelILj39ELj13ELj3EdEEvi20rocsparse_direction_NS_24const_host_device_scalarIT2_EEPKiS6_PKS3_iiS8_S4_PS3_21rocsparse_index_base_b.uses_flat_scratch, 0
	.set _ZN9rocsparseL22gebsrmvn_mxn_16_kernelILj39ELj13ELj3EdEEvi20rocsparse_direction_NS_24const_host_device_scalarIT2_EEPKiS6_PKS3_iiS8_S4_PS3_21rocsparse_index_base_b.has_dyn_sized_stack, 0
	.set _ZN9rocsparseL22gebsrmvn_mxn_16_kernelILj39ELj13ELj3EdEEvi20rocsparse_direction_NS_24const_host_device_scalarIT2_EEPKiS6_PKS3_iiS8_S4_PS3_21rocsparse_index_base_b.has_recursion, 0
	.set _ZN9rocsparseL22gebsrmvn_mxn_16_kernelILj39ELj13ELj3EdEEvi20rocsparse_direction_NS_24const_host_device_scalarIT2_EEPKiS6_PKS3_iiS8_S4_PS3_21rocsparse_index_base_b.has_indirect_call, 0
	.section	.AMDGPU.csdata,"",@progbits
; Kernel info:
; codeLenInByte = 1008
; TotalNumSgprs: 18
; NumVgprs: 16
; ScratchSize: 0
; MemoryBound: 0
; FloatMode: 240
; IeeeMode: 1
; LDSByteSize: 312 bytes/workgroup (compile time only)
; SGPRBlocks: 0
; VGPRBlocks: 0
; NumSGPRsForWavesPerEU: 18
; NumVGPRsForWavesPerEU: 16
; NamedBarCnt: 0
; Occupancy: 16
; WaveLimiterHint : 1
; COMPUTE_PGM_RSRC2:SCRATCH_EN: 0
; COMPUTE_PGM_RSRC2:USER_SGPR: 2
; COMPUTE_PGM_RSRC2:TRAP_HANDLER: 0
; COMPUTE_PGM_RSRC2:TGID_X_EN: 1
; COMPUTE_PGM_RSRC2:TGID_Y_EN: 0
; COMPUTE_PGM_RSRC2:TGID_Z_EN: 0
; COMPUTE_PGM_RSRC2:TIDIG_COMP_CNT: 0
	.section	.text._ZN9rocsparseL22gebsrmvn_mxn_16_kernelILj52ELj13ELj4EdEEvi20rocsparse_direction_NS_24const_host_device_scalarIT2_EEPKiS6_PKS3_iiS8_S4_PS3_21rocsparse_index_base_b,"axG",@progbits,_ZN9rocsparseL22gebsrmvn_mxn_16_kernelILj52ELj13ELj4EdEEvi20rocsparse_direction_NS_24const_host_device_scalarIT2_EEPKiS6_PKS3_iiS8_S4_PS3_21rocsparse_index_base_b,comdat
	.globl	_ZN9rocsparseL22gebsrmvn_mxn_16_kernelILj52ELj13ELj4EdEEvi20rocsparse_direction_NS_24const_host_device_scalarIT2_EEPKiS6_PKS3_iiS8_S4_PS3_21rocsparse_index_base_b ; -- Begin function _ZN9rocsparseL22gebsrmvn_mxn_16_kernelILj52ELj13ELj4EdEEvi20rocsparse_direction_NS_24const_host_device_scalarIT2_EEPKiS6_PKS3_iiS8_S4_PS3_21rocsparse_index_base_b
	.p2align	8
	.type	_ZN9rocsparseL22gebsrmvn_mxn_16_kernelILj52ELj13ELj4EdEEvi20rocsparse_direction_NS_24const_host_device_scalarIT2_EEPKiS6_PKS3_iiS8_S4_PS3_21rocsparse_index_base_b,@function
_ZN9rocsparseL22gebsrmvn_mxn_16_kernelILj52ELj13ELj4EdEEvi20rocsparse_direction_NS_24const_host_device_scalarIT2_EEPKiS6_PKS3_iiS8_S4_PS3_21rocsparse_index_base_b: ; @_ZN9rocsparseL22gebsrmvn_mxn_16_kernelILj52ELj13ELj4EdEEvi20rocsparse_direction_NS_24const_host_device_scalarIT2_EEPKiS6_PKS3_iiS8_S4_PS3_21rocsparse_index_base_b
; %bb.0:
	s_clause 0x2
	s_load_b64 s[10:11], s[0:1], 0x48
	s_load_b64 s[4:5], s[0:1], 0x8
	;; [unrolled: 1-line block ×3, first 2 shown]
	s_wait_kmcnt 0x0
	s_bitcmp1_b32 s11, 0
	v_mov_b64_e32 v[4:5], s[4:5]
	s_cselect_b32 s6, -1, 0
	s_delay_alu instid0(SALU_CYCLE_1)
	s_and_b32 vcc_lo, exec_lo, s6
	s_xor_b32 s6, s6, -1
	s_cbranch_vccnz .LBB37_2
; %bb.1:
	v_mov_b32_e32 v1, 0
	flat_load_b64 v[4:5], v1, s[4:5]
.LBB37_2:
	v_mov_b64_e32 v[2:3], s[2:3]
	s_and_not1_b32 vcc_lo, exec_lo, s6
	s_cbranch_vccnz .LBB37_4
; %bb.3:
	s_wait_xcnt 0x0
	v_mov_b32_e32 v1, 0
	flat_load_b64 v[2:3], v1, s[2:3]
.LBB37_4:
	s_wait_loadcnt_dscnt 0x0
	v_cmp_neq_f64_e32 vcc_lo, 0, v[4:5]
	s_delay_alu instid0(VALU_DEP_2) | instskip(SKIP_1) | instid1(SALU_CYCLE_1)
	v_cmp_neq_f64_e64 s2, 1.0, v[2:3]
	s_or_b32 s2, vcc_lo, s2
	s_and_saveexec_b32 s3, s2
	s_cbranch_execz .LBB37_33
; %bb.5:
	s_clause 0x1
	s_load_b32 s4, s[0:1], 0x4
	s_load_b64 s[2:3], s[0:1], 0x10
	v_and_b32_e32 v1, 3, v0
	s_delay_alu instid0(VALU_DEP_1) | instskip(SKIP_3) | instid1(SALU_CYCLE_1)
	v_mov_b32_e32 v8, v1
	s_wait_kmcnt 0x0
	s_cmp_lg_u32 s4, 1
	s_cselect_b32 s11, -1, 0
	s_and_b32 vcc_lo, exec_lo, s11
	s_cbranch_vccnz .LBB37_7
; %bb.6:
	v_mul_u32_u24_e32 v6, 0x13b2, v0
	s_delay_alu instid0(VALU_DEP_1)
	v_bfe_u32 v8, v6, 16, 2
.LBB37_7:
	s_bfe_u32 s4, ttmp6, 0x4000c
	s_and_b32 s5, ttmp6, 15
	s_add_co_i32 s4, s4, 1
	s_getreg_b32 s6, hwreg(HW_REG_IB_STS2, 6, 4)
	s_mul_i32 s4, ttmp9, s4
	v_mov_b64_e32 v[6:7], 0
	s_add_co_i32 s5, s5, s4
	s_cmp_eq_u32 s6, 0
	s_cselect_b32 s8, ttmp9, s5
	s_delay_alu instid0(SALU_CYCLE_1) | instskip(NEXT) | instid1(SALU_CYCLE_1)
	s_ashr_i32 s9, s8, 31
	s_lshl_b64 s[4:5], s[8:9], 2
	s_delay_alu instid0(SALU_CYCLE_1)
	s_add_nc_u64 s[4:5], s[2:3], s[4:5]
	s_load_b64 s[14:15], s[4:5], 0x0
	s_load_b64 s[2:3], s[0:1], 0x40
	s_wait_kmcnt 0x0
	s_cmp_ge_i32 s14, s15
	s_cbranch_scc1 .LBB37_12
; %bb.8:
	s_clause 0x1
	s_load_b128 s[4:7], s[0:1], 0x18
	s_load_b64 s[12:13], s[0:1], 0x30
	v_mad_u32 v10, s14, 52, v0
	v_mul_u32_u24_e32 v9, 0x4ed, v0
	s_wait_xcnt 0x0
	s_mul_i32 s0, s10, 52
	v_mov_b64_e32 v[6:7], 0
	s_sub_co_i32 s1, s14, s10
	v_lshrrev_b32_e32 v9, 16, v9
	s_delay_alu instid0(VALU_DEP_4)
	v_subrev_nc_u32_e32 v10, s0, v10
	s_sub_co_i32 s0, s15, s10
	s_branch .LBB37_10
.LBB37_9:                               ;   in Loop: Header=BB37_10 Depth=1
	s_or_b32 exec_lo, exec_lo, s9
	v_add_nc_u32_e32 v10, 52, v10
	s_add_co_i32 s1, s1, 1
	s_delay_alu instid0(SALU_CYCLE_1)
	s_cmp_ge_i32 s1, s0
	s_cbranch_scc1 .LBB37_12
.LBB37_10:                              ; =>This Inner Loop Header: Depth=1
	s_delay_alu instid0(VALU_DEP_2) | instskip(SKIP_1) | instid1(VALU_DEP_1)
	v_add_nc_u32_e32 v11, s1, v9
	s_mov_b32 s9, exec_lo
	v_cmpx_gt_i32_e64 s0, v11
	s_cbranch_execz .LBB37_9
; %bb.11:                               ;   in Loop: Header=BB37_10 Depth=1
	s_wait_kmcnt 0x0
	global_load_b32 v11, v11, s[4:5] scale_offset
	s_wait_loadcnt 0x0
	v_subrev_nc_u32_e32 v11, s10, v11
	s_delay_alu instid0(VALU_DEP_1)
	v_lshl_or_b32 v11, v11, 2, v8
	global_load_b64 v[12:13], v10, s[6:7] scale_offset
	global_load_b64 v[14:15], v11, s[12:13] scale_offset
	s_wait_loadcnt 0x0
	v_fmac_f64_e32 v[6:7], v[12:13], v[14:15]
	s_branch .LBB37_9
.LBB37_12:
	v_lshlrev_b32_e32 v10, 3, v0
	s_and_b32 vcc_lo, exec_lo, s11
	ds_store_b64 v10, v[6:7]
	s_wait_dscnt 0x0
	s_barrier_signal -1
	s_barrier_wait -1
	s_cbranch_vccz .LBB37_20
; %bb.13:
	s_mov_b32 s0, exec_lo
	v_cmpx_gt_u32_e32 2, v1
	s_cbranch_execz .LBB37_15
; %bb.14:
	ds_load_2addr_b64 v[12:15], v10 offset1:2
	s_wait_dscnt 0x0
	v_add_f64_e32 v[8:9], v[14:15], v[12:13]
	ds_store_b64 v10, v[8:9]
.LBB37_15:
	s_or_b32 exec_lo, exec_lo, s0
	s_delay_alu instid0(SALU_CYCLE_1)
	s_mov_b32 s0, exec_lo
	s_wait_dscnt 0x0
	s_barrier_signal -1
	s_barrier_wait -1
	v_cmpx_eq_u32_e32 0, v1
	s_cbranch_execz .LBB37_17
; %bb.16:
	ds_load_2addr_b64 v[12:15], v10 offset1:1
	s_wait_dscnt 0x0
	v_add_f64_e32 v[8:9], v[14:15], v[12:13]
	ds_store_b64 v10, v[8:9]
.LBB37_17:
	s_or_b32 exec_lo, exec_lo, s0
	v_mov_b64_e32 v[8:9], v[6:7]
	s_mov_b32 s0, exec_lo
	s_wait_dscnt 0x0
	s_barrier_signal -1
	s_barrier_wait -1
	v_cmpx_gt_u32_e32 13, v0
; %bb.18:
	v_mad_u32_u24 v1, v0, 24, v10
	ds_load_b64 v[8:9], v1
; %bb.19:
	s_or_b32 exec_lo, exec_lo, s0
	s_branch .LBB37_28
.LBB37_20:
                                        ; implicit-def: $vgpr8_vgpr9
	s_cbranch_execz .LBB37_28
; %bb.21:
	s_mov_b32 s0, exec_lo
	v_cmpx_gt_u32_e32 26, v0
	s_cbranch_execz .LBB37_23
; %bb.22:
	ds_load_2addr_b64 v[12:15], v10 offset1:26
	s_wait_dscnt 0x0
	v_add_f64_e32 v[8:9], v[14:15], v[12:13]
	ds_store_b64 v10, v[8:9]
.LBB37_23:
	s_or_b32 exec_lo, exec_lo, s0
	s_delay_alu instid0(SALU_CYCLE_1)
	s_mov_b32 s0, exec_lo
	s_wait_dscnt 0x0
	v_cmpx_lt_u32_e32 12, v0
	s_xor_b32 s0, exec_lo, s0
; %bb.24:
                                        ; implicit-def: $vgpr10
; %bb.25:
	s_delay_alu instid0(SALU_CYCLE_1)
	s_and_not1_saveexec_b32 s0, s0
	s_cbranch_execz .LBB37_27
; %bb.26:
	ds_load_2addr_b64 v[6:9], v10 offset1:13
	s_wait_dscnt 0x0
	v_add_f64_e32 v[6:7], v[8:9], v[6:7]
	ds_store_b64 v10, v[6:7]
	s_wait_dscnt 0x0
	ds_load_b64 v[6:7], v10
.LBB37_27:
	s_or_b32 exec_lo, exec_lo, s0
	s_wait_dscnt 0x0
	v_mov_b64_e32 v[8:9], v[6:7]
.LBB37_28:
	v_cmp_gt_u32_e32 vcc_lo, 13, v0
	s_and_b32 exec_lo, exec_lo, vcc_lo
	s_cbranch_execz .LBB37_33
; %bb.29:
	s_wait_dscnt 0x0
	s_delay_alu instid0(VALU_DEP_2)
	v_mul_f64_e32 v[4:5], v[4:5], v[8:9]
	v_mad_u32 v0, s8, 13, v0
	s_mov_b32 s0, exec_lo
	v_cmpx_eq_f64_e32 0, v[2:3]
	s_xor_b32 s0, exec_lo, s0
	s_cbranch_execz .LBB37_31
; %bb.30:
	global_store_b64 v0, v[4:5], s[2:3] scale_offset
                                        ; implicit-def: $vgpr0
                                        ; implicit-def: $vgpr2_vgpr3
                                        ; implicit-def: $vgpr4_vgpr5
.LBB37_31:
	s_wait_xcnt 0x0
	s_and_not1_saveexec_b32 s0, s0
	s_cbranch_execz .LBB37_33
; %bb.32:
	global_load_b64 v[6:7], v0, s[2:3] scale_offset
	s_wait_loadcnt 0x0
	v_fmac_f64_e32 v[4:5], v[2:3], v[6:7]
	global_store_b64 v0, v[4:5], s[2:3] scale_offset
.LBB37_33:
	s_endpgm
	.section	.rodata,"a",@progbits
	.p2align	6, 0x0
	.amdhsa_kernel _ZN9rocsparseL22gebsrmvn_mxn_16_kernelILj52ELj13ELj4EdEEvi20rocsparse_direction_NS_24const_host_device_scalarIT2_EEPKiS6_PKS3_iiS8_S4_PS3_21rocsparse_index_base_b
		.amdhsa_group_segment_fixed_size 416
		.amdhsa_private_segment_fixed_size 0
		.amdhsa_kernarg_size 80
		.amdhsa_user_sgpr_count 2
		.amdhsa_user_sgpr_dispatch_ptr 0
		.amdhsa_user_sgpr_queue_ptr 0
		.amdhsa_user_sgpr_kernarg_segment_ptr 1
		.amdhsa_user_sgpr_dispatch_id 0
		.amdhsa_user_sgpr_kernarg_preload_length 0
		.amdhsa_user_sgpr_kernarg_preload_offset 0
		.amdhsa_user_sgpr_private_segment_size 0
		.amdhsa_wavefront_size32 1
		.amdhsa_uses_dynamic_stack 0
		.amdhsa_enable_private_segment 0
		.amdhsa_system_sgpr_workgroup_id_x 1
		.amdhsa_system_sgpr_workgroup_id_y 0
		.amdhsa_system_sgpr_workgroup_id_z 0
		.amdhsa_system_sgpr_workgroup_info 0
		.amdhsa_system_vgpr_workitem_id 0
		.amdhsa_next_free_vgpr 16
		.amdhsa_next_free_sgpr 16
		.amdhsa_named_barrier_count 0
		.amdhsa_reserve_vcc 1
		.amdhsa_float_round_mode_32 0
		.amdhsa_float_round_mode_16_64 0
		.amdhsa_float_denorm_mode_32 3
		.amdhsa_float_denorm_mode_16_64 3
		.amdhsa_fp16_overflow 0
		.amdhsa_memory_ordered 1
		.amdhsa_forward_progress 1
		.amdhsa_inst_pref_size 8
		.amdhsa_round_robin_scheduling 0
		.amdhsa_exception_fp_ieee_invalid_op 0
		.amdhsa_exception_fp_denorm_src 0
		.amdhsa_exception_fp_ieee_div_zero 0
		.amdhsa_exception_fp_ieee_overflow 0
		.amdhsa_exception_fp_ieee_underflow 0
		.amdhsa_exception_fp_ieee_inexact 0
		.amdhsa_exception_int_div_zero 0
	.end_amdhsa_kernel
	.section	.text._ZN9rocsparseL22gebsrmvn_mxn_16_kernelILj52ELj13ELj4EdEEvi20rocsparse_direction_NS_24const_host_device_scalarIT2_EEPKiS6_PKS3_iiS8_S4_PS3_21rocsparse_index_base_b,"axG",@progbits,_ZN9rocsparseL22gebsrmvn_mxn_16_kernelILj52ELj13ELj4EdEEvi20rocsparse_direction_NS_24const_host_device_scalarIT2_EEPKiS6_PKS3_iiS8_S4_PS3_21rocsparse_index_base_b,comdat
.Lfunc_end37:
	.size	_ZN9rocsparseL22gebsrmvn_mxn_16_kernelILj52ELj13ELj4EdEEvi20rocsparse_direction_NS_24const_host_device_scalarIT2_EEPKiS6_PKS3_iiS8_S4_PS3_21rocsparse_index_base_b, .Lfunc_end37-_ZN9rocsparseL22gebsrmvn_mxn_16_kernelILj52ELj13ELj4EdEEvi20rocsparse_direction_NS_24const_host_device_scalarIT2_EEPKiS6_PKS3_iiS8_S4_PS3_21rocsparse_index_base_b
                                        ; -- End function
	.set _ZN9rocsparseL22gebsrmvn_mxn_16_kernelILj52ELj13ELj4EdEEvi20rocsparse_direction_NS_24const_host_device_scalarIT2_EEPKiS6_PKS3_iiS8_S4_PS3_21rocsparse_index_base_b.num_vgpr, 16
	.set _ZN9rocsparseL22gebsrmvn_mxn_16_kernelILj52ELj13ELj4EdEEvi20rocsparse_direction_NS_24const_host_device_scalarIT2_EEPKiS6_PKS3_iiS8_S4_PS3_21rocsparse_index_base_b.num_agpr, 0
	.set _ZN9rocsparseL22gebsrmvn_mxn_16_kernelILj52ELj13ELj4EdEEvi20rocsparse_direction_NS_24const_host_device_scalarIT2_EEPKiS6_PKS3_iiS8_S4_PS3_21rocsparse_index_base_b.numbered_sgpr, 16
	.set _ZN9rocsparseL22gebsrmvn_mxn_16_kernelILj52ELj13ELj4EdEEvi20rocsparse_direction_NS_24const_host_device_scalarIT2_EEPKiS6_PKS3_iiS8_S4_PS3_21rocsparse_index_base_b.num_named_barrier, 0
	.set _ZN9rocsparseL22gebsrmvn_mxn_16_kernelILj52ELj13ELj4EdEEvi20rocsparse_direction_NS_24const_host_device_scalarIT2_EEPKiS6_PKS3_iiS8_S4_PS3_21rocsparse_index_base_b.private_seg_size, 0
	.set _ZN9rocsparseL22gebsrmvn_mxn_16_kernelILj52ELj13ELj4EdEEvi20rocsparse_direction_NS_24const_host_device_scalarIT2_EEPKiS6_PKS3_iiS8_S4_PS3_21rocsparse_index_base_b.uses_vcc, 1
	.set _ZN9rocsparseL22gebsrmvn_mxn_16_kernelILj52ELj13ELj4EdEEvi20rocsparse_direction_NS_24const_host_device_scalarIT2_EEPKiS6_PKS3_iiS8_S4_PS3_21rocsparse_index_base_b.uses_flat_scratch, 0
	.set _ZN9rocsparseL22gebsrmvn_mxn_16_kernelILj52ELj13ELj4EdEEvi20rocsparse_direction_NS_24const_host_device_scalarIT2_EEPKiS6_PKS3_iiS8_S4_PS3_21rocsparse_index_base_b.has_dyn_sized_stack, 0
	.set _ZN9rocsparseL22gebsrmvn_mxn_16_kernelILj52ELj13ELj4EdEEvi20rocsparse_direction_NS_24const_host_device_scalarIT2_EEPKiS6_PKS3_iiS8_S4_PS3_21rocsparse_index_base_b.has_recursion, 0
	.set _ZN9rocsparseL22gebsrmvn_mxn_16_kernelILj52ELj13ELj4EdEEvi20rocsparse_direction_NS_24const_host_device_scalarIT2_EEPKiS6_PKS3_iiS8_S4_PS3_21rocsparse_index_base_b.has_indirect_call, 0
	.section	.AMDGPU.csdata,"",@progbits
; Kernel info:
; codeLenInByte = 900
; TotalNumSgprs: 18
; NumVgprs: 16
; ScratchSize: 0
; MemoryBound: 0
; FloatMode: 240
; IeeeMode: 1
; LDSByteSize: 416 bytes/workgroup (compile time only)
; SGPRBlocks: 0
; VGPRBlocks: 0
; NumSGPRsForWavesPerEU: 18
; NumVGPRsForWavesPerEU: 16
; NamedBarCnt: 0
; Occupancy: 16
; WaveLimiterHint : 1
; COMPUTE_PGM_RSRC2:SCRATCH_EN: 0
; COMPUTE_PGM_RSRC2:USER_SGPR: 2
; COMPUTE_PGM_RSRC2:TRAP_HANDLER: 0
; COMPUTE_PGM_RSRC2:TGID_X_EN: 1
; COMPUTE_PGM_RSRC2:TGID_Y_EN: 0
; COMPUTE_PGM_RSRC2:TGID_Z_EN: 0
; COMPUTE_PGM_RSRC2:TIDIG_COMP_CNT: 0
	.section	.text._ZN9rocsparseL22gebsrmvn_mxn_16_kernelILj65ELj13ELj5EdEEvi20rocsparse_direction_NS_24const_host_device_scalarIT2_EEPKiS6_PKS3_iiS8_S4_PS3_21rocsparse_index_base_b,"axG",@progbits,_ZN9rocsparseL22gebsrmvn_mxn_16_kernelILj65ELj13ELj5EdEEvi20rocsparse_direction_NS_24const_host_device_scalarIT2_EEPKiS6_PKS3_iiS8_S4_PS3_21rocsparse_index_base_b,comdat
	.globl	_ZN9rocsparseL22gebsrmvn_mxn_16_kernelILj65ELj13ELj5EdEEvi20rocsparse_direction_NS_24const_host_device_scalarIT2_EEPKiS6_PKS3_iiS8_S4_PS3_21rocsparse_index_base_b ; -- Begin function _ZN9rocsparseL22gebsrmvn_mxn_16_kernelILj65ELj13ELj5EdEEvi20rocsparse_direction_NS_24const_host_device_scalarIT2_EEPKiS6_PKS3_iiS8_S4_PS3_21rocsparse_index_base_b
	.p2align	8
	.type	_ZN9rocsparseL22gebsrmvn_mxn_16_kernelILj65ELj13ELj5EdEEvi20rocsparse_direction_NS_24const_host_device_scalarIT2_EEPKiS6_PKS3_iiS8_S4_PS3_21rocsparse_index_base_b,@function
_ZN9rocsparseL22gebsrmvn_mxn_16_kernelILj65ELj13ELj5EdEEvi20rocsparse_direction_NS_24const_host_device_scalarIT2_EEPKiS6_PKS3_iiS8_S4_PS3_21rocsparse_index_base_b: ; @_ZN9rocsparseL22gebsrmvn_mxn_16_kernelILj65ELj13ELj5EdEEvi20rocsparse_direction_NS_24const_host_device_scalarIT2_EEPKiS6_PKS3_iiS8_S4_PS3_21rocsparse_index_base_b
; %bb.0:
	s_clause 0x2
	s_load_b64 s[10:11], s[0:1], 0x48
	s_load_b64 s[4:5], s[0:1], 0x8
	;; [unrolled: 1-line block ×3, first 2 shown]
	s_wait_kmcnt 0x0
	s_bitcmp1_b32 s11, 0
	v_mov_b64_e32 v[4:5], s[4:5]
	s_cselect_b32 s6, -1, 0
	s_delay_alu instid0(SALU_CYCLE_1)
	s_and_b32 vcc_lo, exec_lo, s6
	s_xor_b32 s6, s6, -1
	s_cbranch_vccnz .LBB38_2
; %bb.1:
	v_mov_b32_e32 v1, 0
	flat_load_b64 v[4:5], v1, s[4:5]
.LBB38_2:
	v_mov_b64_e32 v[2:3], s[2:3]
	s_and_not1_b32 vcc_lo, exec_lo, s6
	s_cbranch_vccnz .LBB38_4
; %bb.3:
	s_wait_xcnt 0x0
	v_mov_b32_e32 v1, 0
	flat_load_b64 v[2:3], v1, s[2:3]
.LBB38_4:
	s_wait_loadcnt_dscnt 0x0
	v_cmp_neq_f64_e32 vcc_lo, 0, v[4:5]
	s_delay_alu instid0(VALU_DEP_2) | instskip(SKIP_1) | instid1(SALU_CYCLE_1)
	v_cmp_neq_f64_e64 s2, 1.0, v[2:3]
	s_or_b32 s2, vcc_lo, s2
	s_and_saveexec_b32 s3, s2
	s_cbranch_execz .LBB38_37
; %bb.5:
	v_mul_u32_u24_e32 v1, 0x3334, v0
	s_clause 0x1
	s_load_b32 s4, s[0:1], 0x4
	s_load_b64 s[2:3], s[0:1], 0x10
	v_and_b32_e32 v9, 0xffff, v0
	v_lshrrev_b32_e32 v1, 16, v1
	s_delay_alu instid0(VALU_DEP_1) | instskip(NEXT) | instid1(VALU_DEP_1)
	v_mul_lo_u16 v1, v1, 5
	v_sub_nc_u16 v1, v0, v1
	s_delay_alu instid0(VALU_DEP_1) | instskip(SKIP_3) | instid1(SALU_CYCLE_1)
	v_and_b32_e32 v8, 0xffff, v1
	s_wait_kmcnt 0x0
	s_cmp_lg_u32 s4, 1
	s_cselect_b32 s11, -1, 0
	s_and_b32 vcc_lo, exec_lo, s11
	v_mov_b32_e32 v1, v8
	s_cbranch_vccnz .LBB38_7
; %bb.6:
	v_mul_u32_u24_e32 v1, 0x13b2, v9
	s_delay_alu instid0(VALU_DEP_1) | instskip(NEXT) | instid1(VALU_DEP_1)
	v_lshrrev_b32_e32 v1, 16, v1
	v_mul_lo_u16 v6, v1, 52
	s_delay_alu instid0(VALU_DEP_1) | instskip(NEXT) | instid1(VALU_DEP_1)
	v_lshrrev_b16 v6, 8, v6
	v_mul_lo_u16 v6, v6, 5
	s_delay_alu instid0(VALU_DEP_1) | instskip(NEXT) | instid1(VALU_DEP_1)
	v_sub_nc_u16 v1, v1, v6
	v_and_b32_e32 v1, 0xff, v1
.LBB38_7:
	s_bfe_u32 s4, ttmp6, 0x4000c
	s_and_b32 s5, ttmp6, 15
	s_add_co_i32 s4, s4, 1
	s_getreg_b32 s6, hwreg(HW_REG_IB_STS2, 6, 4)
	s_mul_i32 s4, ttmp9, s4
	v_mov_b64_e32 v[6:7], 0
	s_add_co_i32 s5, s5, s4
	s_cmp_eq_u32 s6, 0
	s_cselect_b32 s8, ttmp9, s5
	s_delay_alu instid0(SALU_CYCLE_1) | instskip(NEXT) | instid1(SALU_CYCLE_1)
	s_ashr_i32 s9, s8, 31
	s_lshl_b64 s[4:5], s[8:9], 2
	s_delay_alu instid0(SALU_CYCLE_1)
	s_add_nc_u64 s[4:5], s[2:3], s[4:5]
	s_load_b64 s[14:15], s[4:5], 0x0
	s_load_b64 s[2:3], s[0:1], 0x40
	s_wait_kmcnt 0x0
	s_cmp_ge_i32 s14, s15
	s_cbranch_scc1 .LBB38_12
; %bb.8:
	s_clause 0x1
	s_load_b128 s[4:7], s[0:1], 0x18
	s_load_b64 s[12:13], s[0:1], 0x30
	v_mad_u32 v10, 0x41, s14, v0
	v_mul_u32_u24_e32 v9, 0x3f1, v9
	s_wait_xcnt 0x0
	s_mul_i32 s0, s10, 0x41
	v_mov_b64_e32 v[6:7], 0
	s_sub_co_i32 s1, s14, s10
	v_lshrrev_b32_e32 v9, 16, v9
	s_delay_alu instid0(VALU_DEP_4)
	v_subrev_nc_u32_e32 v10, s0, v10
	s_sub_co_i32 s0, s15, s10
	s_branch .LBB38_10
.LBB38_9:                               ;   in Loop: Header=BB38_10 Depth=1
	s_or_b32 exec_lo, exec_lo, s9
	v_add_nc_u32_e32 v10, 0x41, v10
	s_add_co_i32 s1, s1, 1
	s_delay_alu instid0(SALU_CYCLE_1)
	s_cmp_ge_i32 s1, s0
	s_cbranch_scc1 .LBB38_12
.LBB38_10:                              ; =>This Inner Loop Header: Depth=1
	s_delay_alu instid0(VALU_DEP_2) | instskip(SKIP_1) | instid1(VALU_DEP_1)
	v_add_nc_u32_e32 v11, s1, v9
	s_mov_b32 s9, exec_lo
	v_cmpx_gt_i32_e64 s0, v11
	s_cbranch_execz .LBB38_9
; %bb.11:                               ;   in Loop: Header=BB38_10 Depth=1
	s_wait_kmcnt 0x0
	global_load_b32 v11, v11, s[4:5] scale_offset
	s_wait_loadcnt 0x0
	v_subrev_nc_u32_e32 v11, s10, v11
	s_delay_alu instid0(VALU_DEP_1)
	v_mad_u32 v11, v11, 5, v1
	global_load_b64 v[12:13], v10, s[6:7] scale_offset
	global_load_b64 v[14:15], v11, s[12:13] scale_offset
	s_wait_loadcnt 0x0
	v_fmac_f64_e32 v[6:7], v[12:13], v[14:15]
	s_branch .LBB38_9
.LBB38_12:
	v_lshlrev_b32_e32 v1, 3, v0
	s_and_b32 vcc_lo, exec_lo, s11
	ds_store_b64 v1, v[6:7]
	s_wait_dscnt 0x0
	s_barrier_signal -1
	s_barrier_wait -1
	s_cbranch_vccz .LBB38_22
; %bb.13:
	v_cmp_eq_u16_e32 vcc_lo, 0, v8
	s_and_saveexec_b32 s0, vcc_lo
	s_cbranch_execz .LBB38_15
; %bb.14:
	ds_load_2addr_b64 v[10:13], v1 offset1:4
	s_wait_dscnt 0x0
	v_add_f64_e32 v[10:11], v[12:13], v[10:11]
	ds_store_b64 v1, v[10:11]
.LBB38_15:
	s_or_b32 exec_lo, exec_lo, s0
	s_delay_alu instid0(SALU_CYCLE_1)
	s_mov_b32 s1, exec_lo
	s_wait_dscnt 0x0
	s_barrier_signal -1
	s_barrier_wait -1
	v_cmpx_gt_u16_e32 2, v8
	s_cbranch_execz .LBB38_17
; %bb.16:
	ds_load_2addr_b64 v[8:11], v1 offset1:2
	s_wait_dscnt 0x0
	v_add_f64_e32 v[8:9], v[10:11], v[8:9]
	ds_store_b64 v1, v[8:9]
.LBB38_17:
	s_or_b32 exec_lo, exec_lo, s1
	s_wait_dscnt 0x0
	s_barrier_signal -1
	s_barrier_wait -1
	s_and_saveexec_b32 s0, vcc_lo
	s_cbranch_execz .LBB38_19
; %bb.18:
	ds_load_2addr_b64 v[8:11], v1 offset1:1
	s_wait_dscnt 0x0
	v_add_f64_e32 v[8:9], v[10:11], v[8:9]
	ds_store_b64 v1, v[8:9]
.LBB38_19:
	s_or_b32 exec_lo, exec_lo, s0
	v_mov_b64_e32 v[8:9], v[6:7]
	s_mov_b32 s0, exec_lo
	s_wait_dscnt 0x0
	s_barrier_signal -1
	s_barrier_wait -1
	v_cmpx_gt_u32_e32 13, v0
; %bb.20:
	v_lshl_add_u32 v8, v0, 5, v1
	ds_load_b64 v[8:9], v8
; %bb.21:
	s_or_b32 exec_lo, exec_lo, s0
	v_cmp_gt_u32_e64 s0, 13, v0
	s_branch .LBB38_32
.LBB38_22:
                                        ; implicit-def: $vgpr8_vgpr9
	v_cmp_gt_u32_e64 s0, 13, v0
	s_cbranch_execz .LBB38_32
; %bb.23:
	v_cmp_lt_u32_e32 vcc_lo, 12, v0
	s_and_saveexec_b32 s1, s0
	s_cbranch_execz .LBB38_25
; %bb.24:
	s_wait_dscnt 0x0
	ds_load_2addr_b64 v[8:11], v1 offset1:52
	s_wait_dscnt 0x0
	v_add_f64_e32 v[8:9], v[10:11], v[8:9]
	ds_store_b64 v1, v[8:9]
.LBB38_25:
	s_or_b32 exec_lo, exec_lo, s1
	s_delay_alu instid0(SALU_CYCLE_1)
	s_mov_b32 s1, exec_lo
	s_wait_dscnt 0x0
	s_barrier_signal -1
	s_barrier_wait -1
	v_cmpx_gt_u32_e32 26, v0
	s_cbranch_execz .LBB38_27
; %bb.26:
	ds_load_2addr_b64 v[8:11], v1 offset1:26
	s_wait_dscnt 0x0
	v_add_f64_e32 v[8:9], v[10:11], v[8:9]
	ds_store_b64 v1, v[8:9]
.LBB38_27:
	s_or_b32 exec_lo, exec_lo, s1
	s_wait_dscnt 0x0
	s_and_saveexec_b32 s0, vcc_lo
	s_delay_alu instid0(SALU_CYCLE_1)
	s_xor_b32 s0, exec_lo, s0
; %bb.28:
                                        ; implicit-def: $vgpr1
; %bb.29:
	s_delay_alu instid0(SALU_CYCLE_1)
	s_and_not1_saveexec_b32 s0, s0
	s_cbranch_execz .LBB38_31
; %bb.30:
	ds_load_2addr_b64 v[6:9], v1 offset1:13
	s_wait_dscnt 0x0
	v_add_f64_e32 v[6:7], v[8:9], v[6:7]
	ds_store_b64 v1, v[6:7]
	s_wait_dscnt 0x0
	ds_load_b64 v[6:7], v1
.LBB38_31:
	s_or_b32 exec_lo, exec_lo, s0
	s_wait_dscnt 0x0
	v_mov_b64_e32 v[8:9], v[6:7]
.LBB38_32:
	v_cmp_gt_u32_e32 vcc_lo, 13, v0
	s_and_b32 exec_lo, exec_lo, vcc_lo
	s_cbranch_execz .LBB38_37
; %bb.33:
	s_wait_dscnt 0x0
	s_delay_alu instid0(VALU_DEP_2)
	v_mul_f64_e32 v[4:5], v[4:5], v[8:9]
	v_mad_u32 v0, s8, 13, v0
	s_mov_b32 s0, exec_lo
	v_cmpx_eq_f64_e32 0, v[2:3]
	s_xor_b32 s0, exec_lo, s0
	s_cbranch_execz .LBB38_35
; %bb.34:
	global_store_b64 v0, v[4:5], s[2:3] scale_offset
                                        ; implicit-def: $vgpr0
                                        ; implicit-def: $vgpr2_vgpr3
                                        ; implicit-def: $vgpr4_vgpr5
.LBB38_35:
	s_wait_xcnt 0x0
	s_and_not1_saveexec_b32 s0, s0
	s_cbranch_execz .LBB38_37
; %bb.36:
	global_load_b64 v[6:7], v0, s[2:3] scale_offset
	s_wait_loadcnt 0x0
	v_fmac_f64_e32 v[4:5], v[2:3], v[6:7]
	global_store_b64 v0, v[4:5], s[2:3] scale_offset
.LBB38_37:
	s_endpgm
	.section	.rodata,"a",@progbits
	.p2align	6, 0x0
	.amdhsa_kernel _ZN9rocsparseL22gebsrmvn_mxn_16_kernelILj65ELj13ELj5EdEEvi20rocsparse_direction_NS_24const_host_device_scalarIT2_EEPKiS6_PKS3_iiS8_S4_PS3_21rocsparse_index_base_b
		.amdhsa_group_segment_fixed_size 520
		.amdhsa_private_segment_fixed_size 0
		.amdhsa_kernarg_size 80
		.amdhsa_user_sgpr_count 2
		.amdhsa_user_sgpr_dispatch_ptr 0
		.amdhsa_user_sgpr_queue_ptr 0
		.amdhsa_user_sgpr_kernarg_segment_ptr 1
		.amdhsa_user_sgpr_dispatch_id 0
		.amdhsa_user_sgpr_kernarg_preload_length 0
		.amdhsa_user_sgpr_kernarg_preload_offset 0
		.amdhsa_user_sgpr_private_segment_size 0
		.amdhsa_wavefront_size32 1
		.amdhsa_uses_dynamic_stack 0
		.amdhsa_enable_private_segment 0
		.amdhsa_system_sgpr_workgroup_id_x 1
		.amdhsa_system_sgpr_workgroup_id_y 0
		.amdhsa_system_sgpr_workgroup_id_z 0
		.amdhsa_system_sgpr_workgroup_info 0
		.amdhsa_system_vgpr_workitem_id 0
		.amdhsa_next_free_vgpr 16
		.amdhsa_next_free_sgpr 16
		.amdhsa_named_barrier_count 0
		.amdhsa_reserve_vcc 1
		.amdhsa_float_round_mode_32 0
		.amdhsa_float_round_mode_16_64 0
		.amdhsa_float_denorm_mode_32 3
		.amdhsa_float_denorm_mode_16_64 3
		.amdhsa_fp16_overflow 0
		.amdhsa_memory_ordered 1
		.amdhsa_forward_progress 1
		.amdhsa_inst_pref_size 9
		.amdhsa_round_robin_scheduling 0
		.amdhsa_exception_fp_ieee_invalid_op 0
		.amdhsa_exception_fp_denorm_src 0
		.amdhsa_exception_fp_ieee_div_zero 0
		.amdhsa_exception_fp_ieee_overflow 0
		.amdhsa_exception_fp_ieee_underflow 0
		.amdhsa_exception_fp_ieee_inexact 0
		.amdhsa_exception_int_div_zero 0
	.end_amdhsa_kernel
	.section	.text._ZN9rocsparseL22gebsrmvn_mxn_16_kernelILj65ELj13ELj5EdEEvi20rocsparse_direction_NS_24const_host_device_scalarIT2_EEPKiS6_PKS3_iiS8_S4_PS3_21rocsparse_index_base_b,"axG",@progbits,_ZN9rocsparseL22gebsrmvn_mxn_16_kernelILj65ELj13ELj5EdEEvi20rocsparse_direction_NS_24const_host_device_scalarIT2_EEPKiS6_PKS3_iiS8_S4_PS3_21rocsparse_index_base_b,comdat
.Lfunc_end38:
	.size	_ZN9rocsparseL22gebsrmvn_mxn_16_kernelILj65ELj13ELj5EdEEvi20rocsparse_direction_NS_24const_host_device_scalarIT2_EEPKiS6_PKS3_iiS8_S4_PS3_21rocsparse_index_base_b, .Lfunc_end38-_ZN9rocsparseL22gebsrmvn_mxn_16_kernelILj65ELj13ELj5EdEEvi20rocsparse_direction_NS_24const_host_device_scalarIT2_EEPKiS6_PKS3_iiS8_S4_PS3_21rocsparse_index_base_b
                                        ; -- End function
	.set _ZN9rocsparseL22gebsrmvn_mxn_16_kernelILj65ELj13ELj5EdEEvi20rocsparse_direction_NS_24const_host_device_scalarIT2_EEPKiS6_PKS3_iiS8_S4_PS3_21rocsparse_index_base_b.num_vgpr, 16
	.set _ZN9rocsparseL22gebsrmvn_mxn_16_kernelILj65ELj13ELj5EdEEvi20rocsparse_direction_NS_24const_host_device_scalarIT2_EEPKiS6_PKS3_iiS8_S4_PS3_21rocsparse_index_base_b.num_agpr, 0
	.set _ZN9rocsparseL22gebsrmvn_mxn_16_kernelILj65ELj13ELj5EdEEvi20rocsparse_direction_NS_24const_host_device_scalarIT2_EEPKiS6_PKS3_iiS8_S4_PS3_21rocsparse_index_base_b.numbered_sgpr, 16
	.set _ZN9rocsparseL22gebsrmvn_mxn_16_kernelILj65ELj13ELj5EdEEvi20rocsparse_direction_NS_24const_host_device_scalarIT2_EEPKiS6_PKS3_iiS8_S4_PS3_21rocsparse_index_base_b.num_named_barrier, 0
	.set _ZN9rocsparseL22gebsrmvn_mxn_16_kernelILj65ELj13ELj5EdEEvi20rocsparse_direction_NS_24const_host_device_scalarIT2_EEPKiS6_PKS3_iiS8_S4_PS3_21rocsparse_index_base_b.private_seg_size, 0
	.set _ZN9rocsparseL22gebsrmvn_mxn_16_kernelILj65ELj13ELj5EdEEvi20rocsparse_direction_NS_24const_host_device_scalarIT2_EEPKiS6_PKS3_iiS8_S4_PS3_21rocsparse_index_base_b.uses_vcc, 1
	.set _ZN9rocsparseL22gebsrmvn_mxn_16_kernelILj65ELj13ELj5EdEEvi20rocsparse_direction_NS_24const_host_device_scalarIT2_EEPKiS6_PKS3_iiS8_S4_PS3_21rocsparse_index_base_b.uses_flat_scratch, 0
	.set _ZN9rocsparseL22gebsrmvn_mxn_16_kernelILj65ELj13ELj5EdEEvi20rocsparse_direction_NS_24const_host_device_scalarIT2_EEPKiS6_PKS3_iiS8_S4_PS3_21rocsparse_index_base_b.has_dyn_sized_stack, 0
	.set _ZN9rocsparseL22gebsrmvn_mxn_16_kernelILj65ELj13ELj5EdEEvi20rocsparse_direction_NS_24const_host_device_scalarIT2_EEPKiS6_PKS3_iiS8_S4_PS3_21rocsparse_index_base_b.has_recursion, 0
	.set _ZN9rocsparseL22gebsrmvn_mxn_16_kernelILj65ELj13ELj5EdEEvi20rocsparse_direction_NS_24const_host_device_scalarIT2_EEPKiS6_PKS3_iiS8_S4_PS3_21rocsparse_index_base_b.has_indirect_call, 0
	.section	.AMDGPU.csdata,"",@progbits
; Kernel info:
; codeLenInByte = 1120
; TotalNumSgprs: 18
; NumVgprs: 16
; ScratchSize: 0
; MemoryBound: 0
; FloatMode: 240
; IeeeMode: 1
; LDSByteSize: 520 bytes/workgroup (compile time only)
; SGPRBlocks: 0
; VGPRBlocks: 0
; NumSGPRsForWavesPerEU: 18
; NumVGPRsForWavesPerEU: 16
; NamedBarCnt: 0
; Occupancy: 16
; WaveLimiterHint : 1
; COMPUTE_PGM_RSRC2:SCRATCH_EN: 0
; COMPUTE_PGM_RSRC2:USER_SGPR: 2
; COMPUTE_PGM_RSRC2:TRAP_HANDLER: 0
; COMPUTE_PGM_RSRC2:TGID_X_EN: 1
; COMPUTE_PGM_RSRC2:TGID_Y_EN: 0
; COMPUTE_PGM_RSRC2:TGID_Z_EN: 0
; COMPUTE_PGM_RSRC2:TIDIG_COMP_CNT: 0
	.section	.text._ZN9rocsparseL22gebsrmvn_mxn_16_kernelILj78ELj13ELj6EdEEvi20rocsparse_direction_NS_24const_host_device_scalarIT2_EEPKiS6_PKS3_iiS8_S4_PS3_21rocsparse_index_base_b,"axG",@progbits,_ZN9rocsparseL22gebsrmvn_mxn_16_kernelILj78ELj13ELj6EdEEvi20rocsparse_direction_NS_24const_host_device_scalarIT2_EEPKiS6_PKS3_iiS8_S4_PS3_21rocsparse_index_base_b,comdat
	.globl	_ZN9rocsparseL22gebsrmvn_mxn_16_kernelILj78ELj13ELj6EdEEvi20rocsparse_direction_NS_24const_host_device_scalarIT2_EEPKiS6_PKS3_iiS8_S4_PS3_21rocsparse_index_base_b ; -- Begin function _ZN9rocsparseL22gebsrmvn_mxn_16_kernelILj78ELj13ELj6EdEEvi20rocsparse_direction_NS_24const_host_device_scalarIT2_EEPKiS6_PKS3_iiS8_S4_PS3_21rocsparse_index_base_b
	.p2align	8
	.type	_ZN9rocsparseL22gebsrmvn_mxn_16_kernelILj78ELj13ELj6EdEEvi20rocsparse_direction_NS_24const_host_device_scalarIT2_EEPKiS6_PKS3_iiS8_S4_PS3_21rocsparse_index_base_b,@function
_ZN9rocsparseL22gebsrmvn_mxn_16_kernelILj78ELj13ELj6EdEEvi20rocsparse_direction_NS_24const_host_device_scalarIT2_EEPKiS6_PKS3_iiS8_S4_PS3_21rocsparse_index_base_b: ; @_ZN9rocsparseL22gebsrmvn_mxn_16_kernelILj78ELj13ELj6EdEEvi20rocsparse_direction_NS_24const_host_device_scalarIT2_EEPKiS6_PKS3_iiS8_S4_PS3_21rocsparse_index_base_b
; %bb.0:
	s_clause 0x2
	s_load_b64 s[10:11], s[0:1], 0x48
	s_load_b64 s[4:5], s[0:1], 0x8
	;; [unrolled: 1-line block ×3, first 2 shown]
	s_wait_kmcnt 0x0
	s_bitcmp1_b32 s11, 0
	v_mov_b64_e32 v[4:5], s[4:5]
	s_cselect_b32 s6, -1, 0
	s_delay_alu instid0(SALU_CYCLE_1)
	s_and_b32 vcc_lo, exec_lo, s6
	s_xor_b32 s6, s6, -1
	s_cbranch_vccnz .LBB39_2
; %bb.1:
	v_mov_b32_e32 v1, 0
	flat_load_b64 v[4:5], v1, s[4:5]
.LBB39_2:
	v_mov_b64_e32 v[2:3], s[2:3]
	s_and_not1_b32 vcc_lo, exec_lo, s6
	s_cbranch_vccnz .LBB39_4
; %bb.3:
	s_wait_xcnt 0x0
	v_mov_b32_e32 v1, 0
	flat_load_b64 v[2:3], v1, s[2:3]
.LBB39_4:
	s_wait_loadcnt_dscnt 0x0
	v_cmp_neq_f64_e32 vcc_lo, 0, v[4:5]
	s_delay_alu instid0(VALU_DEP_2) | instskip(SKIP_1) | instid1(SALU_CYCLE_1)
	v_cmp_neq_f64_e64 s2, 1.0, v[2:3]
	s_or_b32 s2, vcc_lo, s2
	s_and_saveexec_b32 s3, s2
	s_cbranch_execz .LBB39_37
; %bb.5:
	v_mul_u32_u24_e32 v1, 0x2aab, v0
	s_clause 0x1
	s_load_b32 s4, s[0:1], 0x4
	s_load_b64 s[2:3], s[0:1], 0x10
	v_and_b32_e32 v9, 0xffff, v0
	v_lshrrev_b32_e32 v1, 16, v1
	s_delay_alu instid0(VALU_DEP_1) | instskip(NEXT) | instid1(VALU_DEP_1)
	v_mul_lo_u16 v1, v1, 6
	v_sub_nc_u16 v1, v0, v1
	s_delay_alu instid0(VALU_DEP_1) | instskip(SKIP_3) | instid1(SALU_CYCLE_1)
	v_and_b32_e32 v8, 0xffff, v1
	s_wait_kmcnt 0x0
	s_cmp_lg_u32 s4, 1
	s_cselect_b32 s11, -1, 0
	s_and_b32 vcc_lo, exec_lo, s11
	v_mov_b32_e32 v1, v8
	s_cbranch_vccnz .LBB39_7
; %bb.6:
	v_mul_u32_u24_e32 v1, 0x13b2, v9
	s_delay_alu instid0(VALU_DEP_1) | instskip(NEXT) | instid1(VALU_DEP_1)
	v_lshrrev_b32_e32 v1, 16, v1
	v_mul_lo_u16 v6, v1, 43
	s_delay_alu instid0(VALU_DEP_1) | instskip(NEXT) | instid1(VALU_DEP_1)
	v_lshrrev_b16 v6, 8, v6
	v_mul_lo_u16 v6, v6, 6
	s_delay_alu instid0(VALU_DEP_1) | instskip(NEXT) | instid1(VALU_DEP_1)
	v_sub_nc_u16 v1, v1, v6
	v_and_b32_e32 v1, 0xff, v1
.LBB39_7:
	s_bfe_u32 s4, ttmp6, 0x4000c
	s_and_b32 s5, ttmp6, 15
	s_add_co_i32 s4, s4, 1
	s_getreg_b32 s6, hwreg(HW_REG_IB_STS2, 6, 4)
	s_mul_i32 s4, ttmp9, s4
	v_mov_b64_e32 v[6:7], 0
	s_add_co_i32 s5, s5, s4
	s_cmp_eq_u32 s6, 0
	s_cselect_b32 s8, ttmp9, s5
	s_delay_alu instid0(SALU_CYCLE_1) | instskip(NEXT) | instid1(SALU_CYCLE_1)
	s_ashr_i32 s9, s8, 31
	s_lshl_b64 s[4:5], s[8:9], 2
	s_delay_alu instid0(SALU_CYCLE_1)
	s_add_nc_u64 s[4:5], s[2:3], s[4:5]
	s_load_b64 s[14:15], s[4:5], 0x0
	s_load_b64 s[2:3], s[0:1], 0x40
	s_wait_kmcnt 0x0
	s_cmp_ge_i32 s14, s15
	s_cbranch_scc1 .LBB39_12
; %bb.8:
	s_clause 0x1
	s_load_b128 s[4:7], s[0:1], 0x18
	s_load_b64 s[12:13], s[0:1], 0x30
	v_mad_u32 v10, 0x4e, s14, v0
	v_mul_u32_u24_e32 v9, 0x349, v9
	s_wait_xcnt 0x0
	s_mul_i32 s0, s10, 0x4e
	v_mov_b64_e32 v[6:7], 0
	s_sub_co_i32 s1, s14, s10
	v_lshrrev_b32_e32 v9, 16, v9
	s_delay_alu instid0(VALU_DEP_4)
	v_subrev_nc_u32_e32 v10, s0, v10
	s_sub_co_i32 s0, s15, s10
	s_branch .LBB39_10
.LBB39_9:                               ;   in Loop: Header=BB39_10 Depth=1
	s_or_b32 exec_lo, exec_lo, s9
	v_add_nc_u32_e32 v10, 0x4e, v10
	s_add_co_i32 s1, s1, 1
	s_delay_alu instid0(SALU_CYCLE_1)
	s_cmp_ge_i32 s1, s0
	s_cbranch_scc1 .LBB39_12
.LBB39_10:                              ; =>This Inner Loop Header: Depth=1
	s_delay_alu instid0(VALU_DEP_2) | instskip(SKIP_1) | instid1(VALU_DEP_1)
	v_add_nc_u32_e32 v11, s1, v9
	s_mov_b32 s9, exec_lo
	v_cmpx_gt_i32_e64 s0, v11
	s_cbranch_execz .LBB39_9
; %bb.11:                               ;   in Loop: Header=BB39_10 Depth=1
	s_wait_kmcnt 0x0
	global_load_b32 v11, v11, s[4:5] scale_offset
	s_wait_loadcnt 0x0
	v_subrev_nc_u32_e32 v11, s10, v11
	s_delay_alu instid0(VALU_DEP_1)
	v_mad_u32 v11, v11, 6, v1
	global_load_b64 v[12:13], v10, s[6:7] scale_offset
	global_load_b64 v[14:15], v11, s[12:13] scale_offset
	s_wait_loadcnt 0x0
	v_fmac_f64_e32 v[6:7], v[12:13], v[14:15]
	s_branch .LBB39_9
.LBB39_12:
	v_lshlrev_b32_e32 v1, 3, v0
	s_and_b32 vcc_lo, exec_lo, s11
	ds_store_b64 v1, v[6:7]
	s_wait_dscnt 0x0
	s_barrier_signal -1
	s_barrier_wait -1
	s_cbranch_vccz .LBB39_22
; %bb.13:
	v_cmp_gt_u16_e32 vcc_lo, 2, v8
	s_and_saveexec_b32 s0, vcc_lo
	s_cbranch_execz .LBB39_15
; %bb.14:
	ds_load_2addr_b64 v[10:13], v1 offset1:4
	s_wait_dscnt 0x0
	v_add_f64_e32 v[10:11], v[12:13], v[10:11]
	ds_store_b64 v1, v[10:11]
.LBB39_15:
	s_or_b32 exec_lo, exec_lo, s0
	s_wait_dscnt 0x0
	s_barrier_signal -1
	s_barrier_wait -1
	s_and_saveexec_b32 s0, vcc_lo
	s_cbranch_execz .LBB39_17
; %bb.16:
	ds_load_2addr_b64 v[10:13], v1 offset1:2
	s_wait_dscnt 0x0
	v_add_f64_e32 v[10:11], v[12:13], v[10:11]
	ds_store_b64 v1, v[10:11]
.LBB39_17:
	s_or_b32 exec_lo, exec_lo, s0
	s_delay_alu instid0(SALU_CYCLE_1)
	s_mov_b32 s0, exec_lo
	s_wait_dscnt 0x0
	s_barrier_signal -1
	s_barrier_wait -1
	v_cmpx_eq_u16_e32 0, v8
	s_cbranch_execz .LBB39_19
; %bb.18:
	ds_load_2addr_b64 v[8:11], v1 offset1:1
	s_wait_dscnt 0x0
	v_add_f64_e32 v[8:9], v[10:11], v[8:9]
	ds_store_b64 v1, v[8:9]
.LBB39_19:
	s_or_b32 exec_lo, exec_lo, s0
	v_mov_b64_e32 v[8:9], v[6:7]
	s_mov_b32 s0, exec_lo
	s_wait_dscnt 0x0
	s_barrier_signal -1
	s_barrier_wait -1
	v_cmpx_gt_u32_e32 13, v0
; %bb.20:
	v_mad_u32_u24 v8, v0, 40, v1
	ds_load_b64 v[8:9], v8
; %bb.21:
	s_or_b32 exec_lo, exec_lo, s0
	s_branch .LBB39_32
.LBB39_22:
                                        ; implicit-def: $vgpr8_vgpr9
	s_cbranch_execz .LBB39_32
; %bb.23:
	v_cmp_gt_u32_e32 vcc_lo, 26, v0
	s_and_saveexec_b32 s0, vcc_lo
	s_cbranch_execz .LBB39_25
; %bb.24:
	s_wait_dscnt 0x0
	ds_load_2addr_b64 v[8:11], v1 offset1:52
	s_wait_dscnt 0x0
	v_add_f64_e32 v[8:9], v[10:11], v[8:9]
	ds_store_b64 v1, v[8:9]
.LBB39_25:
	s_or_b32 exec_lo, exec_lo, s0
	s_wait_dscnt 0x0
	s_barrier_signal -1
	s_barrier_wait -1
	s_and_saveexec_b32 s0, vcc_lo
	s_cbranch_execz .LBB39_27
; %bb.26:
	ds_load_2addr_b64 v[8:11], v1 offset1:26
	s_wait_dscnt 0x0
	v_add_f64_e32 v[8:9], v[10:11], v[8:9]
	ds_store_b64 v1, v[8:9]
.LBB39_27:
	s_or_b32 exec_lo, exec_lo, s0
	s_delay_alu instid0(SALU_CYCLE_1)
	s_mov_b32 s0, exec_lo
	s_wait_dscnt 0x0
	v_cmpx_lt_u32_e32 12, v0
	s_xor_b32 s0, exec_lo, s0
; %bb.28:
                                        ; implicit-def: $vgpr1
; %bb.29:
	s_delay_alu instid0(SALU_CYCLE_1)
	s_and_not1_saveexec_b32 s0, s0
	s_cbranch_execz .LBB39_31
; %bb.30:
	ds_load_2addr_b64 v[6:9], v1 offset1:13
	s_wait_dscnt 0x0
	v_add_f64_e32 v[6:7], v[8:9], v[6:7]
	ds_store_b64 v1, v[6:7]
	s_wait_dscnt 0x0
	ds_load_b64 v[6:7], v1
.LBB39_31:
	s_or_b32 exec_lo, exec_lo, s0
	s_wait_dscnt 0x0
	v_mov_b64_e32 v[8:9], v[6:7]
.LBB39_32:
	v_cmp_gt_u32_e32 vcc_lo, 13, v0
	s_and_b32 exec_lo, exec_lo, vcc_lo
	s_cbranch_execz .LBB39_37
; %bb.33:
	s_wait_dscnt 0x0
	s_delay_alu instid0(VALU_DEP_2)
	v_mul_f64_e32 v[4:5], v[4:5], v[8:9]
	v_mad_u32 v0, s8, 13, v0
	s_mov_b32 s0, exec_lo
	v_cmpx_eq_f64_e32 0, v[2:3]
	s_xor_b32 s0, exec_lo, s0
	s_cbranch_execz .LBB39_35
; %bb.34:
	global_store_b64 v0, v[4:5], s[2:3] scale_offset
                                        ; implicit-def: $vgpr0
                                        ; implicit-def: $vgpr2_vgpr3
                                        ; implicit-def: $vgpr4_vgpr5
.LBB39_35:
	s_wait_xcnt 0x0
	s_and_not1_saveexec_b32 s0, s0
	s_cbranch_execz .LBB39_37
; %bb.36:
	global_load_b64 v[6:7], v0, s[2:3] scale_offset
	s_wait_loadcnt 0x0
	v_fmac_f64_e32 v[4:5], v[2:3], v[6:7]
	global_store_b64 v0, v[4:5], s[2:3] scale_offset
.LBB39_37:
	s_endpgm
	.section	.rodata,"a",@progbits
	.p2align	6, 0x0
	.amdhsa_kernel _ZN9rocsparseL22gebsrmvn_mxn_16_kernelILj78ELj13ELj6EdEEvi20rocsparse_direction_NS_24const_host_device_scalarIT2_EEPKiS6_PKS3_iiS8_S4_PS3_21rocsparse_index_base_b
		.amdhsa_group_segment_fixed_size 624
		.amdhsa_private_segment_fixed_size 0
		.amdhsa_kernarg_size 80
		.amdhsa_user_sgpr_count 2
		.amdhsa_user_sgpr_dispatch_ptr 0
		.amdhsa_user_sgpr_queue_ptr 0
		.amdhsa_user_sgpr_kernarg_segment_ptr 1
		.amdhsa_user_sgpr_dispatch_id 0
		.amdhsa_user_sgpr_kernarg_preload_length 0
		.amdhsa_user_sgpr_kernarg_preload_offset 0
		.amdhsa_user_sgpr_private_segment_size 0
		.amdhsa_wavefront_size32 1
		.amdhsa_uses_dynamic_stack 0
		.amdhsa_enable_private_segment 0
		.amdhsa_system_sgpr_workgroup_id_x 1
		.amdhsa_system_sgpr_workgroup_id_y 0
		.amdhsa_system_sgpr_workgroup_id_z 0
		.amdhsa_system_sgpr_workgroup_info 0
		.amdhsa_system_vgpr_workitem_id 0
		.amdhsa_next_free_vgpr 16
		.amdhsa_next_free_sgpr 16
		.amdhsa_named_barrier_count 0
		.amdhsa_reserve_vcc 1
		.amdhsa_float_round_mode_32 0
		.amdhsa_float_round_mode_16_64 0
		.amdhsa_float_denorm_mode_32 3
		.amdhsa_float_denorm_mode_16_64 3
		.amdhsa_fp16_overflow 0
		.amdhsa_memory_ordered 1
		.amdhsa_forward_progress 1
		.amdhsa_inst_pref_size 9
		.amdhsa_round_robin_scheduling 0
		.amdhsa_exception_fp_ieee_invalid_op 0
		.amdhsa_exception_fp_denorm_src 0
		.amdhsa_exception_fp_ieee_div_zero 0
		.amdhsa_exception_fp_ieee_overflow 0
		.amdhsa_exception_fp_ieee_underflow 0
		.amdhsa_exception_fp_ieee_inexact 0
		.amdhsa_exception_int_div_zero 0
	.end_amdhsa_kernel
	.section	.text._ZN9rocsparseL22gebsrmvn_mxn_16_kernelILj78ELj13ELj6EdEEvi20rocsparse_direction_NS_24const_host_device_scalarIT2_EEPKiS6_PKS3_iiS8_S4_PS3_21rocsparse_index_base_b,"axG",@progbits,_ZN9rocsparseL22gebsrmvn_mxn_16_kernelILj78ELj13ELj6EdEEvi20rocsparse_direction_NS_24const_host_device_scalarIT2_EEPKiS6_PKS3_iiS8_S4_PS3_21rocsparse_index_base_b,comdat
.Lfunc_end39:
	.size	_ZN9rocsparseL22gebsrmvn_mxn_16_kernelILj78ELj13ELj6EdEEvi20rocsparse_direction_NS_24const_host_device_scalarIT2_EEPKiS6_PKS3_iiS8_S4_PS3_21rocsparse_index_base_b, .Lfunc_end39-_ZN9rocsparseL22gebsrmvn_mxn_16_kernelILj78ELj13ELj6EdEEvi20rocsparse_direction_NS_24const_host_device_scalarIT2_EEPKiS6_PKS3_iiS8_S4_PS3_21rocsparse_index_base_b
                                        ; -- End function
	.set _ZN9rocsparseL22gebsrmvn_mxn_16_kernelILj78ELj13ELj6EdEEvi20rocsparse_direction_NS_24const_host_device_scalarIT2_EEPKiS6_PKS3_iiS8_S4_PS3_21rocsparse_index_base_b.num_vgpr, 16
	.set _ZN9rocsparseL22gebsrmvn_mxn_16_kernelILj78ELj13ELj6EdEEvi20rocsparse_direction_NS_24const_host_device_scalarIT2_EEPKiS6_PKS3_iiS8_S4_PS3_21rocsparse_index_base_b.num_agpr, 0
	.set _ZN9rocsparseL22gebsrmvn_mxn_16_kernelILj78ELj13ELj6EdEEvi20rocsparse_direction_NS_24const_host_device_scalarIT2_EEPKiS6_PKS3_iiS8_S4_PS3_21rocsparse_index_base_b.numbered_sgpr, 16
	.set _ZN9rocsparseL22gebsrmvn_mxn_16_kernelILj78ELj13ELj6EdEEvi20rocsparse_direction_NS_24const_host_device_scalarIT2_EEPKiS6_PKS3_iiS8_S4_PS3_21rocsparse_index_base_b.num_named_barrier, 0
	.set _ZN9rocsparseL22gebsrmvn_mxn_16_kernelILj78ELj13ELj6EdEEvi20rocsparse_direction_NS_24const_host_device_scalarIT2_EEPKiS6_PKS3_iiS8_S4_PS3_21rocsparse_index_base_b.private_seg_size, 0
	.set _ZN9rocsparseL22gebsrmvn_mxn_16_kernelILj78ELj13ELj6EdEEvi20rocsparse_direction_NS_24const_host_device_scalarIT2_EEPKiS6_PKS3_iiS8_S4_PS3_21rocsparse_index_base_b.uses_vcc, 1
	.set _ZN9rocsparseL22gebsrmvn_mxn_16_kernelILj78ELj13ELj6EdEEvi20rocsparse_direction_NS_24const_host_device_scalarIT2_EEPKiS6_PKS3_iiS8_S4_PS3_21rocsparse_index_base_b.uses_flat_scratch, 0
	.set _ZN9rocsparseL22gebsrmvn_mxn_16_kernelILj78ELj13ELj6EdEEvi20rocsparse_direction_NS_24const_host_device_scalarIT2_EEPKiS6_PKS3_iiS8_S4_PS3_21rocsparse_index_base_b.has_dyn_sized_stack, 0
	.set _ZN9rocsparseL22gebsrmvn_mxn_16_kernelILj78ELj13ELj6EdEEvi20rocsparse_direction_NS_24const_host_device_scalarIT2_EEPKiS6_PKS3_iiS8_S4_PS3_21rocsparse_index_base_b.has_recursion, 0
	.set _ZN9rocsparseL22gebsrmvn_mxn_16_kernelILj78ELj13ELj6EdEEvi20rocsparse_direction_NS_24const_host_device_scalarIT2_EEPKiS6_PKS3_iiS8_S4_PS3_21rocsparse_index_base_b.has_indirect_call, 0
	.section	.AMDGPU.csdata,"",@progbits
; Kernel info:
; codeLenInByte = 1100
; TotalNumSgprs: 18
; NumVgprs: 16
; ScratchSize: 0
; MemoryBound: 0
; FloatMode: 240
; IeeeMode: 1
; LDSByteSize: 624 bytes/workgroup (compile time only)
; SGPRBlocks: 0
; VGPRBlocks: 0
; NumSGPRsForWavesPerEU: 18
; NumVGPRsForWavesPerEU: 16
; NamedBarCnt: 0
; Occupancy: 16
; WaveLimiterHint : 1
; COMPUTE_PGM_RSRC2:SCRATCH_EN: 0
; COMPUTE_PGM_RSRC2:USER_SGPR: 2
; COMPUTE_PGM_RSRC2:TRAP_HANDLER: 0
; COMPUTE_PGM_RSRC2:TGID_X_EN: 1
; COMPUTE_PGM_RSRC2:TGID_Y_EN: 0
; COMPUTE_PGM_RSRC2:TGID_Z_EN: 0
; COMPUTE_PGM_RSRC2:TIDIG_COMP_CNT: 0
	.section	.text._ZN9rocsparseL22gebsrmvn_mxn_16_kernelILj91ELj13ELj7EdEEvi20rocsparse_direction_NS_24const_host_device_scalarIT2_EEPKiS6_PKS3_iiS8_S4_PS3_21rocsparse_index_base_b,"axG",@progbits,_ZN9rocsparseL22gebsrmvn_mxn_16_kernelILj91ELj13ELj7EdEEvi20rocsparse_direction_NS_24const_host_device_scalarIT2_EEPKiS6_PKS3_iiS8_S4_PS3_21rocsparse_index_base_b,comdat
	.globl	_ZN9rocsparseL22gebsrmvn_mxn_16_kernelILj91ELj13ELj7EdEEvi20rocsparse_direction_NS_24const_host_device_scalarIT2_EEPKiS6_PKS3_iiS8_S4_PS3_21rocsparse_index_base_b ; -- Begin function _ZN9rocsparseL22gebsrmvn_mxn_16_kernelILj91ELj13ELj7EdEEvi20rocsparse_direction_NS_24const_host_device_scalarIT2_EEPKiS6_PKS3_iiS8_S4_PS3_21rocsparse_index_base_b
	.p2align	8
	.type	_ZN9rocsparseL22gebsrmvn_mxn_16_kernelILj91ELj13ELj7EdEEvi20rocsparse_direction_NS_24const_host_device_scalarIT2_EEPKiS6_PKS3_iiS8_S4_PS3_21rocsparse_index_base_b,@function
_ZN9rocsparseL22gebsrmvn_mxn_16_kernelILj91ELj13ELj7EdEEvi20rocsparse_direction_NS_24const_host_device_scalarIT2_EEPKiS6_PKS3_iiS8_S4_PS3_21rocsparse_index_base_b: ; @_ZN9rocsparseL22gebsrmvn_mxn_16_kernelILj91ELj13ELj7EdEEvi20rocsparse_direction_NS_24const_host_device_scalarIT2_EEPKiS6_PKS3_iiS8_S4_PS3_21rocsparse_index_base_b
; %bb.0:
	s_clause 0x2
	s_load_b64 s[10:11], s[0:1], 0x48
	s_load_b64 s[4:5], s[0:1], 0x8
	;; [unrolled: 1-line block ×3, first 2 shown]
	s_wait_kmcnt 0x0
	s_bitcmp1_b32 s11, 0
	v_mov_b64_e32 v[4:5], s[4:5]
	s_cselect_b32 s6, -1, 0
	s_delay_alu instid0(SALU_CYCLE_1)
	s_and_b32 vcc_lo, exec_lo, s6
	s_xor_b32 s6, s6, -1
	s_cbranch_vccnz .LBB40_2
; %bb.1:
	v_mov_b32_e32 v1, 0
	flat_load_b64 v[4:5], v1, s[4:5]
.LBB40_2:
	v_mov_b64_e32 v[2:3], s[2:3]
	s_and_not1_b32 vcc_lo, exec_lo, s6
	s_cbranch_vccnz .LBB40_4
; %bb.3:
	s_wait_xcnt 0x0
	v_mov_b32_e32 v1, 0
	flat_load_b64 v[2:3], v1, s[2:3]
.LBB40_4:
	s_wait_loadcnt_dscnt 0x0
	v_cmp_neq_f64_e32 vcc_lo, 0, v[4:5]
	s_delay_alu instid0(VALU_DEP_2) | instskip(SKIP_1) | instid1(SALU_CYCLE_1)
	v_cmp_neq_f64_e64 s2, 1.0, v[2:3]
	s_or_b32 s2, vcc_lo, s2
	s_and_saveexec_b32 s3, s2
	s_cbranch_execz .LBB40_37
; %bb.5:
	v_mul_u32_u24_e32 v1, 0x2493, v0
	s_clause 0x1
	s_load_b32 s4, s[0:1], 0x4
	s_load_b64 s[2:3], s[0:1], 0x10
	v_and_b32_e32 v9, 0xffff, v0
	v_lshrrev_b32_e32 v1, 16, v1
	s_delay_alu instid0(VALU_DEP_1) | instskip(NEXT) | instid1(VALU_DEP_1)
	v_mul_lo_u16 v1, v1, 7
	v_sub_nc_u16 v1, v0, v1
	s_delay_alu instid0(VALU_DEP_1) | instskip(SKIP_3) | instid1(SALU_CYCLE_1)
	v_and_b32_e32 v8, 0xffff, v1
	s_wait_kmcnt 0x0
	s_cmp_lg_u32 s4, 1
	s_cselect_b32 s11, -1, 0
	s_and_b32 vcc_lo, exec_lo, s11
	v_mov_b32_e32 v1, v8
	s_cbranch_vccnz .LBB40_7
; %bb.6:
	v_mul_u32_u24_e32 v1, 0x13b2, v9
	s_delay_alu instid0(VALU_DEP_1) | instskip(NEXT) | instid1(VALU_DEP_1)
	v_lshrrev_b32_e32 v1, 16, v1
	v_mul_lo_u16 v6, v1, 37
	s_delay_alu instid0(VALU_DEP_1) | instskip(NEXT) | instid1(VALU_DEP_1)
	v_lshrrev_b16 v6, 8, v6
	v_mul_lo_u16 v6, v6, 7
	s_delay_alu instid0(VALU_DEP_1) | instskip(NEXT) | instid1(VALU_DEP_1)
	v_sub_nc_u16 v1, v1, v6
	v_and_b32_e32 v1, 0xff, v1
.LBB40_7:
	s_bfe_u32 s4, ttmp6, 0x4000c
	s_and_b32 s5, ttmp6, 15
	s_add_co_i32 s4, s4, 1
	s_getreg_b32 s6, hwreg(HW_REG_IB_STS2, 6, 4)
	s_mul_i32 s4, ttmp9, s4
	v_mov_b64_e32 v[6:7], 0
	s_add_co_i32 s5, s5, s4
	s_cmp_eq_u32 s6, 0
	s_cselect_b32 s8, ttmp9, s5
	s_delay_alu instid0(SALU_CYCLE_1) | instskip(NEXT) | instid1(SALU_CYCLE_1)
	s_ashr_i32 s9, s8, 31
	s_lshl_b64 s[4:5], s[8:9], 2
	s_delay_alu instid0(SALU_CYCLE_1)
	s_add_nc_u64 s[4:5], s[2:3], s[4:5]
	s_load_b64 s[14:15], s[4:5], 0x0
	s_load_b64 s[2:3], s[0:1], 0x40
	s_wait_kmcnt 0x0
	s_cmp_ge_i32 s14, s15
	s_cbranch_scc1 .LBB40_12
; %bb.8:
	s_clause 0x1
	s_load_b128 s[4:7], s[0:1], 0x18
	s_load_b64 s[12:13], s[0:1], 0x30
	v_mad_u32 v10, 0x5b, s14, v0
	v_mul_u32_u24_e32 v9, 0x2d1, v9
	s_wait_xcnt 0x0
	s_mul_i32 s0, s10, 0x5b
	v_mov_b64_e32 v[6:7], 0
	s_sub_co_i32 s1, s14, s10
	v_lshrrev_b32_e32 v9, 16, v9
	s_delay_alu instid0(VALU_DEP_4)
	v_subrev_nc_u32_e32 v10, s0, v10
	s_sub_co_i32 s0, s15, s10
	s_branch .LBB40_10
.LBB40_9:                               ;   in Loop: Header=BB40_10 Depth=1
	s_or_b32 exec_lo, exec_lo, s9
	v_add_nc_u32_e32 v10, 0x5b, v10
	s_add_co_i32 s1, s1, 1
	s_delay_alu instid0(SALU_CYCLE_1)
	s_cmp_ge_i32 s1, s0
	s_cbranch_scc1 .LBB40_12
.LBB40_10:                              ; =>This Inner Loop Header: Depth=1
	s_delay_alu instid0(VALU_DEP_2) | instskip(SKIP_1) | instid1(VALU_DEP_1)
	v_add_nc_u32_e32 v11, s1, v9
	s_mov_b32 s9, exec_lo
	v_cmpx_gt_i32_e64 s0, v11
	s_cbranch_execz .LBB40_9
; %bb.11:                               ;   in Loop: Header=BB40_10 Depth=1
	s_wait_kmcnt 0x0
	global_load_b32 v11, v11, s[4:5] scale_offset
	s_wait_loadcnt 0x0
	v_subrev_nc_u32_e32 v11, s10, v11
	s_delay_alu instid0(VALU_DEP_1)
	v_mad_u32 v11, v11, 7, v1
	global_load_b64 v[12:13], v10, s[6:7] scale_offset
	global_load_b64 v[14:15], v11, s[12:13] scale_offset
	s_wait_loadcnt 0x0
	v_fmac_f64_e32 v[6:7], v[12:13], v[14:15]
	s_branch .LBB40_9
.LBB40_12:
	v_lshlrev_b32_e32 v1, 3, v0
	s_and_b32 vcc_lo, exec_lo, s11
	ds_store_b64 v1, v[6:7]
	s_wait_dscnt 0x0
	s_barrier_signal -1
	s_barrier_wait -1
	s_cbranch_vccz .LBB40_22
; %bb.13:
	s_mov_b32 s0, exec_lo
	v_cmpx_gt_u16_e32 3, v8
	s_cbranch_execz .LBB40_15
; %bb.14:
	ds_load_2addr_b64 v[10:13], v1 offset1:4
	s_wait_dscnt 0x0
	v_add_f64_e32 v[10:11], v[12:13], v[10:11]
	ds_store_b64 v1, v[10:11]
.LBB40_15:
	s_or_b32 exec_lo, exec_lo, s0
	s_delay_alu instid0(SALU_CYCLE_1)
	s_mov_b32 s0, exec_lo
	s_wait_dscnt 0x0
	s_barrier_signal -1
	s_barrier_wait -1
	v_cmpx_gt_u16_e32 2, v8
	s_cbranch_execz .LBB40_17
; %bb.16:
	ds_load_2addr_b64 v[10:13], v1 offset1:2
	s_wait_dscnt 0x0
	v_add_f64_e32 v[10:11], v[12:13], v[10:11]
	ds_store_b64 v1, v[10:11]
.LBB40_17:
	s_or_b32 exec_lo, exec_lo, s0
	s_delay_alu instid0(SALU_CYCLE_1)
	s_mov_b32 s0, exec_lo
	s_wait_dscnt 0x0
	s_barrier_signal -1
	s_barrier_wait -1
	v_cmpx_eq_u16_e32 0, v8
	s_cbranch_execz .LBB40_19
; %bb.18:
	ds_load_2addr_b64 v[8:11], v1 offset1:1
	s_wait_dscnt 0x0
	v_add_f64_e32 v[8:9], v[10:11], v[8:9]
	ds_store_b64 v1, v[8:9]
.LBB40_19:
	s_or_b32 exec_lo, exec_lo, s0
	v_mov_b64_e32 v[8:9], v[6:7]
	s_mov_b32 s0, exec_lo
	s_wait_dscnt 0x0
	s_barrier_signal -1
	s_barrier_wait -1
	v_cmpx_gt_u32_e32 13, v0
; %bb.20:
	v_mad_u32_u24 v8, v0, 48, v1
	ds_load_b64 v[8:9], v8
; %bb.21:
	s_or_b32 exec_lo, exec_lo, s0
	s_branch .LBB40_32
.LBB40_22:
                                        ; implicit-def: $vgpr8_vgpr9
	s_cbranch_execz .LBB40_32
; %bb.23:
	s_mov_b32 s0, exec_lo
	v_cmpx_gt_u32_e32 39, v0
	s_cbranch_execz .LBB40_25
; %bb.24:
	s_wait_dscnt 0x0
	ds_load_2addr_b64 v[8:11], v1 offset1:52
	s_wait_dscnt 0x0
	v_add_f64_e32 v[8:9], v[10:11], v[8:9]
	ds_store_b64 v1, v[8:9]
.LBB40_25:
	s_or_b32 exec_lo, exec_lo, s0
	s_delay_alu instid0(SALU_CYCLE_1)
	s_mov_b32 s0, exec_lo
	s_wait_dscnt 0x0
	s_barrier_signal -1
	s_barrier_wait -1
	v_cmpx_gt_u32_e32 26, v0
	s_cbranch_execz .LBB40_27
; %bb.26:
	ds_load_2addr_b64 v[8:11], v1 offset1:26
	s_wait_dscnt 0x0
	v_add_f64_e32 v[8:9], v[10:11], v[8:9]
	ds_store_b64 v1, v[8:9]
.LBB40_27:
	s_or_b32 exec_lo, exec_lo, s0
	s_delay_alu instid0(SALU_CYCLE_1)
	s_mov_b32 s0, exec_lo
	s_wait_dscnt 0x0
	v_cmpx_lt_u32_e32 12, v0
	s_xor_b32 s0, exec_lo, s0
; %bb.28:
                                        ; implicit-def: $vgpr1
; %bb.29:
	s_delay_alu instid0(SALU_CYCLE_1)
	s_and_not1_saveexec_b32 s0, s0
	s_cbranch_execz .LBB40_31
; %bb.30:
	ds_load_2addr_b64 v[6:9], v1 offset1:13
	s_wait_dscnt 0x0
	v_add_f64_e32 v[6:7], v[8:9], v[6:7]
	ds_store_b64 v1, v[6:7]
	s_wait_dscnt 0x0
	ds_load_b64 v[6:7], v1
.LBB40_31:
	s_or_b32 exec_lo, exec_lo, s0
	s_wait_dscnt 0x0
	v_mov_b64_e32 v[8:9], v[6:7]
.LBB40_32:
	v_cmp_gt_u32_e32 vcc_lo, 13, v0
	s_and_b32 exec_lo, exec_lo, vcc_lo
	s_cbranch_execz .LBB40_37
; %bb.33:
	s_wait_dscnt 0x0
	s_delay_alu instid0(VALU_DEP_2)
	v_mul_f64_e32 v[4:5], v[4:5], v[8:9]
	v_mad_u32 v0, s8, 13, v0
	s_mov_b32 s0, exec_lo
	v_cmpx_eq_f64_e32 0, v[2:3]
	s_xor_b32 s0, exec_lo, s0
	s_cbranch_execz .LBB40_35
; %bb.34:
	global_store_b64 v0, v[4:5], s[2:3] scale_offset
                                        ; implicit-def: $vgpr0
                                        ; implicit-def: $vgpr2_vgpr3
                                        ; implicit-def: $vgpr4_vgpr5
.LBB40_35:
	s_wait_xcnt 0x0
	s_and_not1_saveexec_b32 s0, s0
	s_cbranch_execz .LBB40_37
; %bb.36:
	global_load_b64 v[6:7], v0, s[2:3] scale_offset
	s_wait_loadcnt 0x0
	v_fmac_f64_e32 v[4:5], v[2:3], v[6:7]
	global_store_b64 v0, v[4:5], s[2:3] scale_offset
.LBB40_37:
	s_endpgm
	.section	.rodata,"a",@progbits
	.p2align	6, 0x0
	.amdhsa_kernel _ZN9rocsparseL22gebsrmvn_mxn_16_kernelILj91ELj13ELj7EdEEvi20rocsparse_direction_NS_24const_host_device_scalarIT2_EEPKiS6_PKS3_iiS8_S4_PS3_21rocsparse_index_base_b
		.amdhsa_group_segment_fixed_size 728
		.amdhsa_private_segment_fixed_size 0
		.amdhsa_kernarg_size 80
		.amdhsa_user_sgpr_count 2
		.amdhsa_user_sgpr_dispatch_ptr 0
		.amdhsa_user_sgpr_queue_ptr 0
		.amdhsa_user_sgpr_kernarg_segment_ptr 1
		.amdhsa_user_sgpr_dispatch_id 0
		.amdhsa_user_sgpr_kernarg_preload_length 0
		.amdhsa_user_sgpr_kernarg_preload_offset 0
		.amdhsa_user_sgpr_private_segment_size 0
		.amdhsa_wavefront_size32 1
		.amdhsa_uses_dynamic_stack 0
		.amdhsa_enable_private_segment 0
		.amdhsa_system_sgpr_workgroup_id_x 1
		.amdhsa_system_sgpr_workgroup_id_y 0
		.amdhsa_system_sgpr_workgroup_id_z 0
		.amdhsa_system_sgpr_workgroup_info 0
		.amdhsa_system_vgpr_workitem_id 0
		.amdhsa_next_free_vgpr 16
		.amdhsa_next_free_sgpr 16
		.amdhsa_named_barrier_count 0
		.amdhsa_reserve_vcc 1
		.amdhsa_float_round_mode_32 0
		.amdhsa_float_round_mode_16_64 0
		.amdhsa_float_denorm_mode_32 3
		.amdhsa_float_denorm_mode_16_64 3
		.amdhsa_fp16_overflow 0
		.amdhsa_memory_ordered 1
		.amdhsa_forward_progress 1
		.amdhsa_inst_pref_size 9
		.amdhsa_round_robin_scheduling 0
		.amdhsa_exception_fp_ieee_invalid_op 0
		.amdhsa_exception_fp_denorm_src 0
		.amdhsa_exception_fp_ieee_div_zero 0
		.amdhsa_exception_fp_ieee_overflow 0
		.amdhsa_exception_fp_ieee_underflow 0
		.amdhsa_exception_fp_ieee_inexact 0
		.amdhsa_exception_int_div_zero 0
	.end_amdhsa_kernel
	.section	.text._ZN9rocsparseL22gebsrmvn_mxn_16_kernelILj91ELj13ELj7EdEEvi20rocsparse_direction_NS_24const_host_device_scalarIT2_EEPKiS6_PKS3_iiS8_S4_PS3_21rocsparse_index_base_b,"axG",@progbits,_ZN9rocsparseL22gebsrmvn_mxn_16_kernelILj91ELj13ELj7EdEEvi20rocsparse_direction_NS_24const_host_device_scalarIT2_EEPKiS6_PKS3_iiS8_S4_PS3_21rocsparse_index_base_b,comdat
.Lfunc_end40:
	.size	_ZN9rocsparseL22gebsrmvn_mxn_16_kernelILj91ELj13ELj7EdEEvi20rocsparse_direction_NS_24const_host_device_scalarIT2_EEPKiS6_PKS3_iiS8_S4_PS3_21rocsparse_index_base_b, .Lfunc_end40-_ZN9rocsparseL22gebsrmvn_mxn_16_kernelILj91ELj13ELj7EdEEvi20rocsparse_direction_NS_24const_host_device_scalarIT2_EEPKiS6_PKS3_iiS8_S4_PS3_21rocsparse_index_base_b
                                        ; -- End function
	.set _ZN9rocsparseL22gebsrmvn_mxn_16_kernelILj91ELj13ELj7EdEEvi20rocsparse_direction_NS_24const_host_device_scalarIT2_EEPKiS6_PKS3_iiS8_S4_PS3_21rocsparse_index_base_b.num_vgpr, 16
	.set _ZN9rocsparseL22gebsrmvn_mxn_16_kernelILj91ELj13ELj7EdEEvi20rocsparse_direction_NS_24const_host_device_scalarIT2_EEPKiS6_PKS3_iiS8_S4_PS3_21rocsparse_index_base_b.num_agpr, 0
	.set _ZN9rocsparseL22gebsrmvn_mxn_16_kernelILj91ELj13ELj7EdEEvi20rocsparse_direction_NS_24const_host_device_scalarIT2_EEPKiS6_PKS3_iiS8_S4_PS3_21rocsparse_index_base_b.numbered_sgpr, 16
	.set _ZN9rocsparseL22gebsrmvn_mxn_16_kernelILj91ELj13ELj7EdEEvi20rocsparse_direction_NS_24const_host_device_scalarIT2_EEPKiS6_PKS3_iiS8_S4_PS3_21rocsparse_index_base_b.num_named_barrier, 0
	.set _ZN9rocsparseL22gebsrmvn_mxn_16_kernelILj91ELj13ELj7EdEEvi20rocsparse_direction_NS_24const_host_device_scalarIT2_EEPKiS6_PKS3_iiS8_S4_PS3_21rocsparse_index_base_b.private_seg_size, 0
	.set _ZN9rocsparseL22gebsrmvn_mxn_16_kernelILj91ELj13ELj7EdEEvi20rocsparse_direction_NS_24const_host_device_scalarIT2_EEPKiS6_PKS3_iiS8_S4_PS3_21rocsparse_index_base_b.uses_vcc, 1
	.set _ZN9rocsparseL22gebsrmvn_mxn_16_kernelILj91ELj13ELj7EdEEvi20rocsparse_direction_NS_24const_host_device_scalarIT2_EEPKiS6_PKS3_iiS8_S4_PS3_21rocsparse_index_base_b.uses_flat_scratch, 0
	.set _ZN9rocsparseL22gebsrmvn_mxn_16_kernelILj91ELj13ELj7EdEEvi20rocsparse_direction_NS_24const_host_device_scalarIT2_EEPKiS6_PKS3_iiS8_S4_PS3_21rocsparse_index_base_b.has_dyn_sized_stack, 0
	.set _ZN9rocsparseL22gebsrmvn_mxn_16_kernelILj91ELj13ELj7EdEEvi20rocsparse_direction_NS_24const_host_device_scalarIT2_EEPKiS6_PKS3_iiS8_S4_PS3_21rocsparse_index_base_b.has_recursion, 0
	.set _ZN9rocsparseL22gebsrmvn_mxn_16_kernelILj91ELj13ELj7EdEEvi20rocsparse_direction_NS_24const_host_device_scalarIT2_EEPKiS6_PKS3_iiS8_S4_PS3_21rocsparse_index_base_b.has_indirect_call, 0
	.section	.AMDGPU.csdata,"",@progbits
; Kernel info:
; codeLenInByte = 1116
; TotalNumSgprs: 18
; NumVgprs: 16
; ScratchSize: 0
; MemoryBound: 0
; FloatMode: 240
; IeeeMode: 1
; LDSByteSize: 728 bytes/workgroup (compile time only)
; SGPRBlocks: 0
; VGPRBlocks: 0
; NumSGPRsForWavesPerEU: 18
; NumVGPRsForWavesPerEU: 16
; NamedBarCnt: 0
; Occupancy: 16
; WaveLimiterHint : 1
; COMPUTE_PGM_RSRC2:SCRATCH_EN: 0
; COMPUTE_PGM_RSRC2:USER_SGPR: 2
; COMPUTE_PGM_RSRC2:TRAP_HANDLER: 0
; COMPUTE_PGM_RSRC2:TGID_X_EN: 1
; COMPUTE_PGM_RSRC2:TGID_Y_EN: 0
; COMPUTE_PGM_RSRC2:TGID_Z_EN: 0
; COMPUTE_PGM_RSRC2:TIDIG_COMP_CNT: 0
	.section	.text._ZN9rocsparseL22gebsrmvn_mxn_16_kernelILj104ELj13ELj8EdEEvi20rocsparse_direction_NS_24const_host_device_scalarIT2_EEPKiS6_PKS3_iiS8_S4_PS3_21rocsparse_index_base_b,"axG",@progbits,_ZN9rocsparseL22gebsrmvn_mxn_16_kernelILj104ELj13ELj8EdEEvi20rocsparse_direction_NS_24const_host_device_scalarIT2_EEPKiS6_PKS3_iiS8_S4_PS3_21rocsparse_index_base_b,comdat
	.globl	_ZN9rocsparseL22gebsrmvn_mxn_16_kernelILj104ELj13ELj8EdEEvi20rocsparse_direction_NS_24const_host_device_scalarIT2_EEPKiS6_PKS3_iiS8_S4_PS3_21rocsparse_index_base_b ; -- Begin function _ZN9rocsparseL22gebsrmvn_mxn_16_kernelILj104ELj13ELj8EdEEvi20rocsparse_direction_NS_24const_host_device_scalarIT2_EEPKiS6_PKS3_iiS8_S4_PS3_21rocsparse_index_base_b
	.p2align	8
	.type	_ZN9rocsparseL22gebsrmvn_mxn_16_kernelILj104ELj13ELj8EdEEvi20rocsparse_direction_NS_24const_host_device_scalarIT2_EEPKiS6_PKS3_iiS8_S4_PS3_21rocsparse_index_base_b,@function
_ZN9rocsparseL22gebsrmvn_mxn_16_kernelILj104ELj13ELj8EdEEvi20rocsparse_direction_NS_24const_host_device_scalarIT2_EEPKiS6_PKS3_iiS8_S4_PS3_21rocsparse_index_base_b: ; @_ZN9rocsparseL22gebsrmvn_mxn_16_kernelILj104ELj13ELj8EdEEvi20rocsparse_direction_NS_24const_host_device_scalarIT2_EEPKiS6_PKS3_iiS8_S4_PS3_21rocsparse_index_base_b
; %bb.0:
	s_clause 0x2
	s_load_b64 s[10:11], s[0:1], 0x48
	s_load_b64 s[4:5], s[0:1], 0x8
	;; [unrolled: 1-line block ×3, first 2 shown]
	s_wait_kmcnt 0x0
	s_bitcmp1_b32 s11, 0
	v_mov_b64_e32 v[4:5], s[4:5]
	s_cselect_b32 s6, -1, 0
	s_delay_alu instid0(SALU_CYCLE_1)
	s_and_b32 vcc_lo, exec_lo, s6
	s_xor_b32 s6, s6, -1
	s_cbranch_vccnz .LBB41_2
; %bb.1:
	v_mov_b32_e32 v1, 0
	flat_load_b64 v[4:5], v1, s[4:5]
.LBB41_2:
	v_mov_b64_e32 v[2:3], s[2:3]
	s_and_not1_b32 vcc_lo, exec_lo, s6
	s_cbranch_vccnz .LBB41_4
; %bb.3:
	s_wait_xcnt 0x0
	v_mov_b32_e32 v1, 0
	flat_load_b64 v[2:3], v1, s[2:3]
.LBB41_4:
	s_wait_loadcnt_dscnt 0x0
	v_cmp_neq_f64_e32 vcc_lo, 0, v[4:5]
	s_delay_alu instid0(VALU_DEP_2) | instskip(SKIP_1) | instid1(SALU_CYCLE_1)
	v_cmp_neq_f64_e64 s2, 1.0, v[2:3]
	s_or_b32 s2, vcc_lo, s2
	s_and_saveexec_b32 s3, s2
	s_cbranch_execz .LBB41_37
; %bb.5:
	s_clause 0x1
	s_load_b32 s4, s[0:1], 0x4
	s_load_b64 s[2:3], s[0:1], 0x10
	v_and_b32_e32 v8, 7, v0
	s_delay_alu instid0(VALU_DEP_1) | instskip(SKIP_3) | instid1(SALU_CYCLE_1)
	v_mov_b32_e32 v1, v8
	s_wait_kmcnt 0x0
	s_cmp_lg_u32 s4, 1
	s_cselect_b32 s11, -1, 0
	s_and_b32 vcc_lo, exec_lo, s11
	s_cbranch_vccnz .LBB41_7
; %bb.6:
	v_mul_u32_u24_e32 v1, 0x13b2, v0
	s_delay_alu instid0(VALU_DEP_1)
	v_bfe_u32 v1, v1, 16, 3
.LBB41_7:
	s_bfe_u32 s4, ttmp6, 0x4000c
	s_and_b32 s5, ttmp6, 15
	s_add_co_i32 s4, s4, 1
	s_getreg_b32 s6, hwreg(HW_REG_IB_STS2, 6, 4)
	s_mul_i32 s4, ttmp9, s4
	v_mov_b64_e32 v[6:7], 0
	s_add_co_i32 s5, s5, s4
	s_cmp_eq_u32 s6, 0
	s_cselect_b32 s8, ttmp9, s5
	s_delay_alu instid0(SALU_CYCLE_1) | instskip(NEXT) | instid1(SALU_CYCLE_1)
	s_ashr_i32 s9, s8, 31
	s_lshl_b64 s[4:5], s[8:9], 2
	s_delay_alu instid0(SALU_CYCLE_1)
	s_add_nc_u64 s[4:5], s[2:3], s[4:5]
	s_load_b64 s[14:15], s[4:5], 0x0
	s_load_b64 s[2:3], s[0:1], 0x40
	s_wait_kmcnt 0x0
	s_cmp_ge_i32 s14, s15
	s_cbranch_scc1 .LBB41_12
; %bb.8:
	s_clause 0x1
	s_load_b128 s[4:7], s[0:1], 0x18
	s_load_b64 s[12:13], s[0:1], 0x30
	v_mad_u32 v10, 0x68, s14, v0
	v_mul_u32_u24_e32 v9, 0x277, v0
	s_wait_xcnt 0x0
	s_mul_i32 s0, s10, 0x68
	v_mov_b64_e32 v[6:7], 0
	s_sub_co_i32 s1, s14, s10
	v_lshrrev_b32_e32 v9, 16, v9
	s_delay_alu instid0(VALU_DEP_4)
	v_subrev_nc_u32_e32 v10, s0, v10
	s_sub_co_i32 s0, s15, s10
	s_branch .LBB41_10
.LBB41_9:                               ;   in Loop: Header=BB41_10 Depth=1
	s_or_b32 exec_lo, exec_lo, s9
	v_add_nc_u32_e32 v10, 0x68, v10
	s_add_co_i32 s1, s1, 1
	s_delay_alu instid0(SALU_CYCLE_1)
	s_cmp_ge_i32 s1, s0
	s_cbranch_scc1 .LBB41_12
.LBB41_10:                              ; =>This Inner Loop Header: Depth=1
	s_delay_alu instid0(VALU_DEP_2) | instskip(SKIP_1) | instid1(VALU_DEP_1)
	v_add_nc_u32_e32 v11, s1, v9
	s_mov_b32 s9, exec_lo
	v_cmpx_gt_i32_e64 s0, v11
	s_cbranch_execz .LBB41_9
; %bb.11:                               ;   in Loop: Header=BB41_10 Depth=1
	s_wait_kmcnt 0x0
	global_load_b32 v11, v11, s[4:5] scale_offset
	s_wait_loadcnt 0x0
	v_subrev_nc_u32_e32 v11, s10, v11
	s_delay_alu instid0(VALU_DEP_1)
	v_lshl_or_b32 v11, v11, 3, v1
	global_load_b64 v[12:13], v10, s[6:7] scale_offset
	global_load_b64 v[14:15], v11, s[12:13] scale_offset
	s_wait_loadcnt 0x0
	v_fmac_f64_e32 v[6:7], v[12:13], v[14:15]
	s_branch .LBB41_9
.LBB41_12:
	v_lshlrev_b32_e32 v1, 3, v0
	s_and_b32 vcc_lo, exec_lo, s11
	ds_store_b64 v1, v[6:7]
	s_wait_dscnt 0x0
	s_barrier_signal -1
	s_barrier_wait -1
	s_cbranch_vccz .LBB41_22
; %bb.13:
	s_mov_b32 s0, exec_lo
	v_cmpx_gt_u32_e32 4, v8
	s_cbranch_execz .LBB41_15
; %bb.14:
	ds_load_2addr_b64 v[10:13], v1 offset1:4
	s_wait_dscnt 0x0
	v_add_f64_e32 v[10:11], v[12:13], v[10:11]
	ds_store_b64 v1, v[10:11]
.LBB41_15:
	s_or_b32 exec_lo, exec_lo, s0
	s_delay_alu instid0(SALU_CYCLE_1)
	s_mov_b32 s0, exec_lo
	s_wait_dscnt 0x0
	s_barrier_signal -1
	s_barrier_wait -1
	v_cmpx_gt_u32_e32 2, v8
	s_cbranch_execz .LBB41_17
; %bb.16:
	ds_load_2addr_b64 v[10:13], v1 offset1:2
	s_wait_dscnt 0x0
	v_add_f64_e32 v[10:11], v[12:13], v[10:11]
	ds_store_b64 v1, v[10:11]
.LBB41_17:
	s_or_b32 exec_lo, exec_lo, s0
	s_delay_alu instid0(SALU_CYCLE_1)
	s_mov_b32 s0, exec_lo
	s_wait_dscnt 0x0
	s_barrier_signal -1
	s_barrier_wait -1
	v_cmpx_eq_u32_e32 0, v8
	s_cbranch_execz .LBB41_19
; %bb.18:
	ds_load_2addr_b64 v[8:11], v1 offset1:1
	s_wait_dscnt 0x0
	v_add_f64_e32 v[8:9], v[10:11], v[8:9]
	ds_store_b64 v1, v[8:9]
.LBB41_19:
	s_or_b32 exec_lo, exec_lo, s0
	v_mov_b64_e32 v[8:9], v[6:7]
	s_mov_b32 s0, exec_lo
	s_wait_dscnt 0x0
	s_barrier_signal -1
	s_barrier_wait -1
	v_cmpx_gt_u32_e32 13, v0
; %bb.20:
	v_mad_u32_u24 v8, v0, 56, v1
	ds_load_b64 v[8:9], v8
; %bb.21:
	s_or_b32 exec_lo, exec_lo, s0
	s_branch .LBB41_32
.LBB41_22:
                                        ; implicit-def: $vgpr8_vgpr9
	s_cbranch_execz .LBB41_32
; %bb.23:
	s_mov_b32 s0, exec_lo
	v_cmpx_gt_u32_e32 52, v0
	s_cbranch_execz .LBB41_25
; %bb.24:
	s_wait_dscnt 0x0
	ds_load_2addr_b64 v[8:11], v1 offset1:52
	s_wait_dscnt 0x0
	v_add_f64_e32 v[8:9], v[10:11], v[8:9]
	ds_store_b64 v1, v[8:9]
.LBB41_25:
	s_or_b32 exec_lo, exec_lo, s0
	s_delay_alu instid0(SALU_CYCLE_1)
	s_mov_b32 s0, exec_lo
	s_wait_dscnt 0x0
	s_barrier_signal -1
	s_barrier_wait -1
	v_cmpx_gt_u32_e32 26, v0
	s_cbranch_execz .LBB41_27
; %bb.26:
	ds_load_2addr_b64 v[8:11], v1 offset1:26
	s_wait_dscnt 0x0
	v_add_f64_e32 v[8:9], v[10:11], v[8:9]
	ds_store_b64 v1, v[8:9]
.LBB41_27:
	s_or_b32 exec_lo, exec_lo, s0
	s_delay_alu instid0(SALU_CYCLE_1)
	s_mov_b32 s0, exec_lo
	s_wait_dscnt 0x0
	v_cmpx_lt_u32_e32 12, v0
	s_xor_b32 s0, exec_lo, s0
; %bb.28:
                                        ; implicit-def: $vgpr1
; %bb.29:
	s_delay_alu instid0(SALU_CYCLE_1)
	s_and_not1_saveexec_b32 s0, s0
	s_cbranch_execz .LBB41_31
; %bb.30:
	ds_load_2addr_b64 v[6:9], v1 offset1:13
	s_wait_dscnt 0x0
	v_add_f64_e32 v[6:7], v[8:9], v[6:7]
	ds_store_b64 v1, v[6:7]
	s_wait_dscnt 0x0
	ds_load_b64 v[6:7], v1
.LBB41_31:
	s_or_b32 exec_lo, exec_lo, s0
	s_wait_dscnt 0x0
	v_mov_b64_e32 v[8:9], v[6:7]
.LBB41_32:
	v_cmp_gt_u32_e32 vcc_lo, 13, v0
	s_and_b32 exec_lo, exec_lo, vcc_lo
	s_cbranch_execz .LBB41_37
; %bb.33:
	s_wait_dscnt 0x0
	s_delay_alu instid0(VALU_DEP_2)
	v_mul_f64_e32 v[4:5], v[4:5], v[8:9]
	v_mad_u32 v0, s8, 13, v0
	s_mov_b32 s0, exec_lo
	v_cmpx_eq_f64_e32 0, v[2:3]
	s_xor_b32 s0, exec_lo, s0
	s_cbranch_execz .LBB41_35
; %bb.34:
	global_store_b64 v0, v[4:5], s[2:3] scale_offset
                                        ; implicit-def: $vgpr0
                                        ; implicit-def: $vgpr2_vgpr3
                                        ; implicit-def: $vgpr4_vgpr5
.LBB41_35:
	s_wait_xcnt 0x0
	s_and_not1_saveexec_b32 s0, s0
	s_cbranch_execz .LBB41_37
; %bb.36:
	global_load_b64 v[6:7], v0, s[2:3] scale_offset
	s_wait_loadcnt 0x0
	v_fmac_f64_e32 v[4:5], v[2:3], v[6:7]
	global_store_b64 v0, v[4:5], s[2:3] scale_offset
.LBB41_37:
	s_endpgm
	.section	.rodata,"a",@progbits
	.p2align	6, 0x0
	.amdhsa_kernel _ZN9rocsparseL22gebsrmvn_mxn_16_kernelILj104ELj13ELj8EdEEvi20rocsparse_direction_NS_24const_host_device_scalarIT2_EEPKiS6_PKS3_iiS8_S4_PS3_21rocsparse_index_base_b
		.amdhsa_group_segment_fixed_size 832
		.amdhsa_private_segment_fixed_size 0
		.amdhsa_kernarg_size 80
		.amdhsa_user_sgpr_count 2
		.amdhsa_user_sgpr_dispatch_ptr 0
		.amdhsa_user_sgpr_queue_ptr 0
		.amdhsa_user_sgpr_kernarg_segment_ptr 1
		.amdhsa_user_sgpr_dispatch_id 0
		.amdhsa_user_sgpr_kernarg_preload_length 0
		.amdhsa_user_sgpr_kernarg_preload_offset 0
		.amdhsa_user_sgpr_private_segment_size 0
		.amdhsa_wavefront_size32 1
		.amdhsa_uses_dynamic_stack 0
		.amdhsa_enable_private_segment 0
		.amdhsa_system_sgpr_workgroup_id_x 1
		.amdhsa_system_sgpr_workgroup_id_y 0
		.amdhsa_system_sgpr_workgroup_id_z 0
		.amdhsa_system_sgpr_workgroup_info 0
		.amdhsa_system_vgpr_workitem_id 0
		.amdhsa_next_free_vgpr 16
		.amdhsa_next_free_sgpr 16
		.amdhsa_named_barrier_count 0
		.amdhsa_reserve_vcc 1
		.amdhsa_float_round_mode_32 0
		.amdhsa_float_round_mode_16_64 0
		.amdhsa_float_denorm_mode_32 3
		.amdhsa_float_denorm_mode_16_64 3
		.amdhsa_fp16_overflow 0
		.amdhsa_memory_ordered 1
		.amdhsa_forward_progress 1
		.amdhsa_inst_pref_size 9
		.amdhsa_round_robin_scheduling 0
		.amdhsa_exception_fp_ieee_invalid_op 0
		.amdhsa_exception_fp_denorm_src 0
		.amdhsa_exception_fp_ieee_div_zero 0
		.amdhsa_exception_fp_ieee_overflow 0
		.amdhsa_exception_fp_ieee_underflow 0
		.amdhsa_exception_fp_ieee_inexact 0
		.amdhsa_exception_int_div_zero 0
	.end_amdhsa_kernel
	.section	.text._ZN9rocsparseL22gebsrmvn_mxn_16_kernelILj104ELj13ELj8EdEEvi20rocsparse_direction_NS_24const_host_device_scalarIT2_EEPKiS6_PKS3_iiS8_S4_PS3_21rocsparse_index_base_b,"axG",@progbits,_ZN9rocsparseL22gebsrmvn_mxn_16_kernelILj104ELj13ELj8EdEEvi20rocsparse_direction_NS_24const_host_device_scalarIT2_EEPKiS6_PKS3_iiS8_S4_PS3_21rocsparse_index_base_b,comdat
.Lfunc_end41:
	.size	_ZN9rocsparseL22gebsrmvn_mxn_16_kernelILj104ELj13ELj8EdEEvi20rocsparse_direction_NS_24const_host_device_scalarIT2_EEPKiS6_PKS3_iiS8_S4_PS3_21rocsparse_index_base_b, .Lfunc_end41-_ZN9rocsparseL22gebsrmvn_mxn_16_kernelILj104ELj13ELj8EdEEvi20rocsparse_direction_NS_24const_host_device_scalarIT2_EEPKiS6_PKS3_iiS8_S4_PS3_21rocsparse_index_base_b
                                        ; -- End function
	.set _ZN9rocsparseL22gebsrmvn_mxn_16_kernelILj104ELj13ELj8EdEEvi20rocsparse_direction_NS_24const_host_device_scalarIT2_EEPKiS6_PKS3_iiS8_S4_PS3_21rocsparse_index_base_b.num_vgpr, 16
	.set _ZN9rocsparseL22gebsrmvn_mxn_16_kernelILj104ELj13ELj8EdEEvi20rocsparse_direction_NS_24const_host_device_scalarIT2_EEPKiS6_PKS3_iiS8_S4_PS3_21rocsparse_index_base_b.num_agpr, 0
	.set _ZN9rocsparseL22gebsrmvn_mxn_16_kernelILj104ELj13ELj8EdEEvi20rocsparse_direction_NS_24const_host_device_scalarIT2_EEPKiS6_PKS3_iiS8_S4_PS3_21rocsparse_index_base_b.numbered_sgpr, 16
	.set _ZN9rocsparseL22gebsrmvn_mxn_16_kernelILj104ELj13ELj8EdEEvi20rocsparse_direction_NS_24const_host_device_scalarIT2_EEPKiS6_PKS3_iiS8_S4_PS3_21rocsparse_index_base_b.num_named_barrier, 0
	.set _ZN9rocsparseL22gebsrmvn_mxn_16_kernelILj104ELj13ELj8EdEEvi20rocsparse_direction_NS_24const_host_device_scalarIT2_EEPKiS6_PKS3_iiS8_S4_PS3_21rocsparse_index_base_b.private_seg_size, 0
	.set _ZN9rocsparseL22gebsrmvn_mxn_16_kernelILj104ELj13ELj8EdEEvi20rocsparse_direction_NS_24const_host_device_scalarIT2_EEPKiS6_PKS3_iiS8_S4_PS3_21rocsparse_index_base_b.uses_vcc, 1
	.set _ZN9rocsparseL22gebsrmvn_mxn_16_kernelILj104ELj13ELj8EdEEvi20rocsparse_direction_NS_24const_host_device_scalarIT2_EEPKiS6_PKS3_iiS8_S4_PS3_21rocsparse_index_base_b.uses_flat_scratch, 0
	.set _ZN9rocsparseL22gebsrmvn_mxn_16_kernelILj104ELj13ELj8EdEEvi20rocsparse_direction_NS_24const_host_device_scalarIT2_EEPKiS6_PKS3_iiS8_S4_PS3_21rocsparse_index_base_b.has_dyn_sized_stack, 0
	.set _ZN9rocsparseL22gebsrmvn_mxn_16_kernelILj104ELj13ELj8EdEEvi20rocsparse_direction_NS_24const_host_device_scalarIT2_EEPKiS6_PKS3_iiS8_S4_PS3_21rocsparse_index_base_b.has_recursion, 0
	.set _ZN9rocsparseL22gebsrmvn_mxn_16_kernelILj104ELj13ELj8EdEEvi20rocsparse_direction_NS_24const_host_device_scalarIT2_EEPKiS6_PKS3_iiS8_S4_PS3_21rocsparse_index_base_b.has_indirect_call, 0
	.section	.AMDGPU.csdata,"",@progbits
; Kernel info:
; codeLenInByte = 1028
; TotalNumSgprs: 18
; NumVgprs: 16
; ScratchSize: 0
; MemoryBound: 0
; FloatMode: 240
; IeeeMode: 1
; LDSByteSize: 832 bytes/workgroup (compile time only)
; SGPRBlocks: 0
; VGPRBlocks: 0
; NumSGPRsForWavesPerEU: 18
; NumVGPRsForWavesPerEU: 16
; NamedBarCnt: 0
; Occupancy: 16
; WaveLimiterHint : 1
; COMPUTE_PGM_RSRC2:SCRATCH_EN: 0
; COMPUTE_PGM_RSRC2:USER_SGPR: 2
; COMPUTE_PGM_RSRC2:TRAP_HANDLER: 0
; COMPUTE_PGM_RSRC2:TGID_X_EN: 1
; COMPUTE_PGM_RSRC2:TGID_Y_EN: 0
; COMPUTE_PGM_RSRC2:TGID_Z_EN: 0
; COMPUTE_PGM_RSRC2:TIDIG_COMP_CNT: 0
	.section	.text._ZN9rocsparseL23gebsrmvn_general_kernelILj256ELj16EdEEvi20rocsparse_direction_NS_24const_host_device_scalarIT1_EEPKiS6_PKS3_iiS8_S4_PS3_21rocsparse_index_base_b,"axG",@progbits,_ZN9rocsparseL23gebsrmvn_general_kernelILj256ELj16EdEEvi20rocsparse_direction_NS_24const_host_device_scalarIT1_EEPKiS6_PKS3_iiS8_S4_PS3_21rocsparse_index_base_b,comdat
	.globl	_ZN9rocsparseL23gebsrmvn_general_kernelILj256ELj16EdEEvi20rocsparse_direction_NS_24const_host_device_scalarIT1_EEPKiS6_PKS3_iiS8_S4_PS3_21rocsparse_index_base_b ; -- Begin function _ZN9rocsparseL23gebsrmvn_general_kernelILj256ELj16EdEEvi20rocsparse_direction_NS_24const_host_device_scalarIT1_EEPKiS6_PKS3_iiS8_S4_PS3_21rocsparse_index_base_b
	.p2align	8
	.type	_ZN9rocsparseL23gebsrmvn_general_kernelILj256ELj16EdEEvi20rocsparse_direction_NS_24const_host_device_scalarIT1_EEPKiS6_PKS3_iiS8_S4_PS3_21rocsparse_index_base_b,@function
_ZN9rocsparseL23gebsrmvn_general_kernelILj256ELj16EdEEvi20rocsparse_direction_NS_24const_host_device_scalarIT1_EEPKiS6_PKS3_iiS8_S4_PS3_21rocsparse_index_base_b: ; @_ZN9rocsparseL23gebsrmvn_general_kernelILj256ELj16EdEEvi20rocsparse_direction_NS_24const_host_device_scalarIT1_EEPKiS6_PKS3_iiS8_S4_PS3_21rocsparse_index_base_b
; %bb.0:
	s_clause 0x2
	s_load_b64 s[8:9], s[0:1], 0x48
	s_load_b64 s[4:5], s[0:1], 0x8
	;; [unrolled: 1-line block ×3, first 2 shown]
	s_wait_kmcnt 0x0
	s_bitcmp1_b32 s9, 0
	v_mov_b64_e32 v[2:3], s[4:5]
	s_cselect_b32 s6, -1, 0
	s_delay_alu instid0(SALU_CYCLE_1)
	s_and_b32 vcc_lo, exec_lo, s6
	s_xor_b32 s6, s6, -1
	s_cbranch_vccnz .LBB42_2
; %bb.1:
	v_mov_b32_e32 v1, 0
	flat_load_b64 v[2:3], v1, s[4:5]
.LBB42_2:
	v_mov_b64_e32 v[4:5], s[2:3]
	s_and_not1_b32 vcc_lo, exec_lo, s6
	s_cbranch_vccnz .LBB42_4
; %bb.3:
	s_wait_xcnt 0x0
	v_mov_b32_e32 v1, 0
	flat_load_b64 v[4:5], v1, s[2:3]
.LBB42_4:
	s_wait_loadcnt_dscnt 0x0
	v_cmp_neq_f64_e32 vcc_lo, 0, v[2:3]
	s_delay_alu instid0(VALU_DEP_2) | instskip(SKIP_1) | instid1(SALU_CYCLE_1)
	v_cmp_neq_f64_e64 s2, 1.0, v[4:5]
	s_or_b32 s2, vcc_lo, s2
	s_and_saveexec_b32 s3, s2
	s_cbranch_execz .LBB42_24
; %bb.5:
	s_load_b64 s[10:11], s[0:1], 0x28
	v_lshrrev_b32_e32 v8, 4, v0
	s_wait_kmcnt 0x0
	s_delay_alu instid0(VALU_DEP_1)
	v_cmp_gt_i32_e32 vcc_lo, s10, v8
	s_and_b32 exec_lo, exec_lo, vcc_lo
	s_cbranch_execz .LBB42_24
; %bb.6:
	s_load_b128 s[4:7], s[0:1], 0x10
	s_bfe_u32 s2, ttmp6, 0x4000c
	s_and_b32 s3, ttmp6, 15
	s_add_co_i32 s2, s2, 1
	s_getreg_b32 s9, hwreg(HW_REG_IB_STS2, 6, 4)
	s_mul_i32 s2, ttmp9, s2
	v_and_b32_e32 v9, 15, v0
	s_add_co_i32 s3, s3, s2
	s_cmp_eq_u32 s9, 0
	v_mbcnt_lo_u32_b32 v0, -1, 0
	s_cselect_b32 s16, ttmp9, s3
	s_mul_i32 s23, s11, s10
	s_ashr_i32 s17, s16, 31
	s_delay_alu instid0(SALU_CYCLE_1)
	s_lshl_b64 s[2:3], s[16:17], 2
	s_load_b32 s17, s[0:1], 0x4
	v_xor_b32_e32 v11, 1, v0
	v_xor_b32_e32 v7, 2, v0
	;; [unrolled: 1-line block ×4, first 2 shown]
	s_wait_kmcnt 0x0
	s_add_nc_u64 s[2:3], s[4:5], s[2:3]
	s_load_b64 s[20:21], s[2:3], 0x0
	s_clause 0x2
	s_load_b64 s[4:5], s[0:1], 0x20
	s_load_b64 s[12:13], s[0:1], 0x30
	;; [unrolled: 1-line block ×3, first 2 shown]
	s_wait_xcnt 0x0
	v_cmp_eq_f64_e64 s0, 0, v[4:5]
	v_cmp_gt_i32_e32 vcc_lo, 32, v1
	s_mov_b32 s3, 0
	v_cndmask_b32_e32 v1, v0, v1, vcc_lo
	v_cmp_gt_i32_e32 vcc_lo, 32, v6
	v_cmp_gt_i32_e64 s1, s11, v9
	v_cmp_eq_u32_e64 s2, 15, v9
	v_cndmask_b32_e32 v6, v0, v6, vcc_lo
	v_cmp_gt_i32_e32 vcc_lo, 32, v7
	s_delay_alu instid0(VALU_DEP_2)
	v_lshlrev_b32_e32 v12, 2, v6
	s_wait_kmcnt 0x0
	s_sub_co_i32 s9, s20, s8
	v_cndmask_b32_e32 v7, v0, v7, vcc_lo
	v_mad_u32 v10, s10, s9, v8
	v_cmp_gt_i32_e32 vcc_lo, 32, v11
	s_sub_co_i32 s18, s21, s8
	s_cmp_lt_i32 s20, s21
	v_lshlrev_b32_e32 v13, 2, v7
	s_cselect_b32 s19, -1, 0
	v_dual_cndmask_b32 v0, v0, v11 :: v_dual_lshlrev_b32 v11, 2, v1
	s_cmp_lg_u32 s17, 0
	s_mul_i32 s21, s10, s16
	s_cselect_b32 s20, -1, 0
	s_delay_alu instid0(VALU_DEP_4)
	v_mul_lo_u32 v10, s11, v10
	v_lshlrev_b32_e32 v14, 2, v0
	s_lshl_b32 s22, s11, 4
	s_branch .LBB42_8
.LBB42_7:                               ;   in Loop: Header=BB42_8 Depth=1
	s_wait_xcnt 0x0
	s_or_b32 exec_lo, exec_lo, s16
	v_dual_add_nc_u32 v8, 16, v8 :: v_dual_add_nc_u32 v10, s22, v10
	s_delay_alu instid0(VALU_DEP_1) | instskip(SKIP_1) | instid1(SALU_CYCLE_1)
	v_cmp_le_i32_e32 vcc_lo, s10, v8
	s_or_b32 s3, vcc_lo, s3
	s_and_not1_b32 exec_lo, exec_lo, s3
	s_cbranch_execz .LBB42_24
.LBB42_8:                               ; =>This Loop Header: Depth=1
                                        ;     Child Loop BB42_12 Depth 2
                                        ;       Child Loop BB42_15 Depth 3
	v_mov_b64_e32 v[0:1], 0
	s_and_not1_b32 vcc_lo, exec_lo, s19
	s_cbranch_vccnz .LBB42_19
; %bb.9:                                ;   in Loop: Header=BB42_8 Depth=1
	v_mov_b64_e32 v[0:1], 0
	s_wait_dscnt 0x1
	s_delay_alu instid0(VALU_DEP_4)
	v_mov_b32_e32 v6, v10
	s_mov_b32 s16, s9
	s_branch .LBB42_12
.LBB42_10:                              ;   in Loop: Header=BB42_12 Depth=2
	s_or_b32 exec_lo, exec_lo, s25
.LBB42_11:                              ;   in Loop: Header=BB42_12 Depth=2
	s_delay_alu instid0(SALU_CYCLE_1) | instskip(SKIP_2) | instid1(SALU_CYCLE_1)
	s_or_b32 exec_lo, exec_lo, s24
	v_add_nc_u32_e32 v6, s23, v6
	s_add_co_i32 s16, s16, 1
	s_cmp_ge_i32 s16, s18
	s_cbranch_scc1 .LBB42_19
.LBB42_12:                              ;   Parent Loop BB42_8 Depth=1
                                        ; =>  This Loop Header: Depth=2
                                        ;       Child Loop BB42_15 Depth 3
	s_and_saveexec_b32 s24, s1
	s_cbranch_execz .LBB42_11
; %bb.13:                               ;   in Loop: Header=BB42_12 Depth=2
	s_ashr_i32 s17, s16, 31
	s_wait_dscnt 0x0
	v_mov_b32_e32 v7, v9
	s_lshl_b64 s[26:27], s[16:17], 2
	s_mov_b32 s25, 0
	s_add_nc_u64 s[26:27], s[6:7], s[26:27]
	s_load_b32 s17, s[26:27], 0x0
	s_wait_kmcnt 0x0
	s_wait_xcnt 0x0
	s_sub_co_i32 s26, s17, s8
	s_mul_i32 s17, s16, s11
	s_mul_i32 s26, s26, s11
	s_branch .LBB42_15
.LBB42_14:                              ;   in Loop: Header=BB42_15 Depth=3
	v_dual_add_nc_u32 v20, s26, v7 :: v_dual_add_nc_u32 v7, 16, v7
	global_load_b64 v[16:17], v15, s[4:5] scale_offset
	global_load_b64 v[18:19], v20, s[12:13] scale_offset
	v_cmp_le_i32_e32 vcc_lo, s11, v7
	s_or_b32 s25, vcc_lo, s25
	s_wait_loadcnt 0x0
	v_fmac_f64_e32 v[0:1], v[16:17], v[18:19]
	s_wait_xcnt 0x0
	s_and_not1_b32 exec_lo, exec_lo, s25
	s_cbranch_execz .LBB42_10
.LBB42_15:                              ;   Parent Loop BB42_8 Depth=1
                                        ;     Parent Loop BB42_12 Depth=2
                                        ; =>    This Inner Loop Header: Depth=3
	s_and_b32 vcc_lo, exec_lo, s20
	s_cbranch_vccz .LBB42_17
; %bb.16:                               ;   in Loop: Header=BB42_15 Depth=3
	v_add_nc_u32_e32 v15, s17, v7
	s_delay_alu instid0(VALU_DEP_1)
	v_mad_u32 v15, v15, s10, v8
	s_cbranch_execnz .LBB42_14
	s_branch .LBB42_18
.LBB42_17:                              ;   in Loop: Header=BB42_15 Depth=3
                                        ; implicit-def: $vgpr15
.LBB42_18:                              ;   in Loop: Header=BB42_15 Depth=3
	v_add_nc_u32_e32 v15, v6, v7
	s_branch .LBB42_14
.LBB42_19:                              ;   in Loop: Header=BB42_8 Depth=1
	s_wait_dscnt 0x1
	ds_bpermute_b32 v6, v11, v0
	s_wait_dscnt 0x1
	ds_bpermute_b32 v7, v11, v1
	s_wait_dscnt 0x0
	v_add_f64_e32 v[0:1], v[0:1], v[6:7]
	ds_bpermute_b32 v6, v12, v0
	ds_bpermute_b32 v7, v12, v1
	s_wait_dscnt 0x0
	v_add_f64_e32 v[0:1], v[0:1], v[6:7]
	ds_bpermute_b32 v6, v13, v0
	;; [unrolled: 4-line block ×3, first 2 shown]
	ds_bpermute_b32 v7, v14, v1
	s_and_saveexec_b32 s16, s2
	s_cbranch_execz .LBB42_7
; %bb.20:                               ;   in Loop: Header=BB42_8 Depth=1
	s_wait_dscnt 0x0
	v_dual_add_f64 v[0:1], v[0:1], v[6:7] :: v_dual_add_nc_u32 v6, s21, v8
	s_delay_alu instid0(VALU_DEP_1) | instskip(SKIP_1) | instid1(SALU_CYCLE_1)
	v_mul_f64_e32 v[0:1], v[2:3], v[0:1]
	s_and_saveexec_b32 s17, s0
	s_xor_b32 s17, exec_lo, s17
	s_cbranch_execz .LBB42_22
; %bb.21:                               ;   in Loop: Header=BB42_8 Depth=1
	global_store_b64 v6, v[0:1], s[14:15] scale_offset
                                        ; implicit-def: $vgpr6
                                        ; implicit-def: $vgpr0_vgpr1
.LBB42_22:                              ;   in Loop: Header=BB42_8 Depth=1
	s_wait_xcnt 0x0
	s_and_not1_saveexec_b32 s17, s17
	s_cbranch_execz .LBB42_7
; %bb.23:                               ;   in Loop: Header=BB42_8 Depth=1
	global_load_b64 v[16:17], v6, s[14:15] scale_offset
	s_wait_loadcnt 0x0
	v_fmac_f64_e32 v[0:1], v[4:5], v[16:17]
	global_store_b64 v6, v[0:1], s[14:15] scale_offset
	s_branch .LBB42_7
.LBB42_24:
	s_endpgm
	.section	.rodata,"a",@progbits
	.p2align	6, 0x0
	.amdhsa_kernel _ZN9rocsparseL23gebsrmvn_general_kernelILj256ELj16EdEEvi20rocsparse_direction_NS_24const_host_device_scalarIT1_EEPKiS6_PKS3_iiS8_S4_PS3_21rocsparse_index_base_b
		.amdhsa_group_segment_fixed_size 0
		.amdhsa_private_segment_fixed_size 0
		.amdhsa_kernarg_size 80
		.amdhsa_user_sgpr_count 2
		.amdhsa_user_sgpr_dispatch_ptr 0
		.amdhsa_user_sgpr_queue_ptr 0
		.amdhsa_user_sgpr_kernarg_segment_ptr 1
		.amdhsa_user_sgpr_dispatch_id 0
		.amdhsa_user_sgpr_kernarg_preload_length 0
		.amdhsa_user_sgpr_kernarg_preload_offset 0
		.amdhsa_user_sgpr_private_segment_size 0
		.amdhsa_wavefront_size32 1
		.amdhsa_uses_dynamic_stack 0
		.amdhsa_enable_private_segment 0
		.amdhsa_system_sgpr_workgroup_id_x 1
		.amdhsa_system_sgpr_workgroup_id_y 0
		.amdhsa_system_sgpr_workgroup_id_z 0
		.amdhsa_system_sgpr_workgroup_info 0
		.amdhsa_system_vgpr_workitem_id 0
		.amdhsa_next_free_vgpr 21
		.amdhsa_next_free_sgpr 28
		.amdhsa_named_barrier_count 0
		.amdhsa_reserve_vcc 1
		.amdhsa_float_round_mode_32 0
		.amdhsa_float_round_mode_16_64 0
		.amdhsa_float_denorm_mode_32 3
		.amdhsa_float_denorm_mode_16_64 3
		.amdhsa_fp16_overflow 0
		.amdhsa_memory_ordered 1
		.amdhsa_forward_progress 1
		.amdhsa_inst_pref_size 8
		.amdhsa_round_robin_scheduling 0
		.amdhsa_exception_fp_ieee_invalid_op 0
		.amdhsa_exception_fp_denorm_src 0
		.amdhsa_exception_fp_ieee_div_zero 0
		.amdhsa_exception_fp_ieee_overflow 0
		.amdhsa_exception_fp_ieee_underflow 0
		.amdhsa_exception_fp_ieee_inexact 0
		.amdhsa_exception_int_div_zero 0
	.end_amdhsa_kernel
	.section	.text._ZN9rocsparseL23gebsrmvn_general_kernelILj256ELj16EdEEvi20rocsparse_direction_NS_24const_host_device_scalarIT1_EEPKiS6_PKS3_iiS8_S4_PS3_21rocsparse_index_base_b,"axG",@progbits,_ZN9rocsparseL23gebsrmvn_general_kernelILj256ELj16EdEEvi20rocsparse_direction_NS_24const_host_device_scalarIT1_EEPKiS6_PKS3_iiS8_S4_PS3_21rocsparse_index_base_b,comdat
.Lfunc_end42:
	.size	_ZN9rocsparseL23gebsrmvn_general_kernelILj256ELj16EdEEvi20rocsparse_direction_NS_24const_host_device_scalarIT1_EEPKiS6_PKS3_iiS8_S4_PS3_21rocsparse_index_base_b, .Lfunc_end42-_ZN9rocsparseL23gebsrmvn_general_kernelILj256ELj16EdEEvi20rocsparse_direction_NS_24const_host_device_scalarIT1_EEPKiS6_PKS3_iiS8_S4_PS3_21rocsparse_index_base_b
                                        ; -- End function
	.set _ZN9rocsparseL23gebsrmvn_general_kernelILj256ELj16EdEEvi20rocsparse_direction_NS_24const_host_device_scalarIT1_EEPKiS6_PKS3_iiS8_S4_PS3_21rocsparse_index_base_b.num_vgpr, 21
	.set _ZN9rocsparseL23gebsrmvn_general_kernelILj256ELj16EdEEvi20rocsparse_direction_NS_24const_host_device_scalarIT1_EEPKiS6_PKS3_iiS8_S4_PS3_21rocsparse_index_base_b.num_agpr, 0
	.set _ZN9rocsparseL23gebsrmvn_general_kernelILj256ELj16EdEEvi20rocsparse_direction_NS_24const_host_device_scalarIT1_EEPKiS6_PKS3_iiS8_S4_PS3_21rocsparse_index_base_b.numbered_sgpr, 28
	.set _ZN9rocsparseL23gebsrmvn_general_kernelILj256ELj16EdEEvi20rocsparse_direction_NS_24const_host_device_scalarIT1_EEPKiS6_PKS3_iiS8_S4_PS3_21rocsparse_index_base_b.num_named_barrier, 0
	.set _ZN9rocsparseL23gebsrmvn_general_kernelILj256ELj16EdEEvi20rocsparse_direction_NS_24const_host_device_scalarIT1_EEPKiS6_PKS3_iiS8_S4_PS3_21rocsparse_index_base_b.private_seg_size, 0
	.set _ZN9rocsparseL23gebsrmvn_general_kernelILj256ELj16EdEEvi20rocsparse_direction_NS_24const_host_device_scalarIT1_EEPKiS6_PKS3_iiS8_S4_PS3_21rocsparse_index_base_b.uses_vcc, 1
	.set _ZN9rocsparseL23gebsrmvn_general_kernelILj256ELj16EdEEvi20rocsparse_direction_NS_24const_host_device_scalarIT1_EEPKiS6_PKS3_iiS8_S4_PS3_21rocsparse_index_base_b.uses_flat_scratch, 0
	.set _ZN9rocsparseL23gebsrmvn_general_kernelILj256ELj16EdEEvi20rocsparse_direction_NS_24const_host_device_scalarIT1_EEPKiS6_PKS3_iiS8_S4_PS3_21rocsparse_index_base_b.has_dyn_sized_stack, 0
	.set _ZN9rocsparseL23gebsrmvn_general_kernelILj256ELj16EdEEvi20rocsparse_direction_NS_24const_host_device_scalarIT1_EEPKiS6_PKS3_iiS8_S4_PS3_21rocsparse_index_base_b.has_recursion, 0
	.set _ZN9rocsparseL23gebsrmvn_general_kernelILj256ELj16EdEEvi20rocsparse_direction_NS_24const_host_device_scalarIT1_EEPKiS6_PKS3_iiS8_S4_PS3_21rocsparse_index_base_b.has_indirect_call, 0
	.section	.AMDGPU.csdata,"",@progbits
; Kernel info:
; codeLenInByte = 932
; TotalNumSgprs: 30
; NumVgprs: 21
; ScratchSize: 0
; MemoryBound: 0
; FloatMode: 240
; IeeeMode: 1
; LDSByteSize: 0 bytes/workgroup (compile time only)
; SGPRBlocks: 0
; VGPRBlocks: 1
; NumSGPRsForWavesPerEU: 30
; NumVGPRsForWavesPerEU: 21
; NamedBarCnt: 0
; Occupancy: 16
; WaveLimiterHint : 1
; COMPUTE_PGM_RSRC2:SCRATCH_EN: 0
; COMPUTE_PGM_RSRC2:USER_SGPR: 2
; COMPUTE_PGM_RSRC2:TRAP_HANDLER: 0
; COMPUTE_PGM_RSRC2:TGID_X_EN: 1
; COMPUTE_PGM_RSRC2:TGID_Y_EN: 0
; COMPUTE_PGM_RSRC2:TGID_Z_EN: 0
; COMPUTE_PGM_RSRC2:TIDIG_COMP_CNT: 0
	.section	.text._ZN9rocsparseL23gebsrmvn_general_kernelILj512ELj32EdEEvi20rocsparse_direction_NS_24const_host_device_scalarIT1_EEPKiS6_PKS3_iiS8_S4_PS3_21rocsparse_index_base_b,"axG",@progbits,_ZN9rocsparseL23gebsrmvn_general_kernelILj512ELj32EdEEvi20rocsparse_direction_NS_24const_host_device_scalarIT1_EEPKiS6_PKS3_iiS8_S4_PS3_21rocsparse_index_base_b,comdat
	.globl	_ZN9rocsparseL23gebsrmvn_general_kernelILj512ELj32EdEEvi20rocsparse_direction_NS_24const_host_device_scalarIT1_EEPKiS6_PKS3_iiS8_S4_PS3_21rocsparse_index_base_b ; -- Begin function _ZN9rocsparseL23gebsrmvn_general_kernelILj512ELj32EdEEvi20rocsparse_direction_NS_24const_host_device_scalarIT1_EEPKiS6_PKS3_iiS8_S4_PS3_21rocsparse_index_base_b
	.p2align	8
	.type	_ZN9rocsparseL23gebsrmvn_general_kernelILj512ELj32EdEEvi20rocsparse_direction_NS_24const_host_device_scalarIT1_EEPKiS6_PKS3_iiS8_S4_PS3_21rocsparse_index_base_b,@function
_ZN9rocsparseL23gebsrmvn_general_kernelILj512ELj32EdEEvi20rocsparse_direction_NS_24const_host_device_scalarIT1_EEPKiS6_PKS3_iiS8_S4_PS3_21rocsparse_index_base_b: ; @_ZN9rocsparseL23gebsrmvn_general_kernelILj512ELj32EdEEvi20rocsparse_direction_NS_24const_host_device_scalarIT1_EEPKiS6_PKS3_iiS8_S4_PS3_21rocsparse_index_base_b
; %bb.0:
	s_clause 0x2
	s_load_b64 s[8:9], s[0:1], 0x48
	s_load_b64 s[4:5], s[0:1], 0x8
	;; [unrolled: 1-line block ×3, first 2 shown]
	s_wait_kmcnt 0x0
	s_bitcmp1_b32 s9, 0
	v_mov_b64_e32 v[2:3], s[4:5]
	s_cselect_b32 s6, -1, 0
	s_delay_alu instid0(SALU_CYCLE_1)
	s_and_b32 vcc_lo, exec_lo, s6
	s_xor_b32 s6, s6, -1
	s_cbranch_vccnz .LBB43_2
; %bb.1:
	v_mov_b32_e32 v1, 0
	flat_load_b64 v[2:3], v1, s[4:5]
.LBB43_2:
	v_mov_b64_e32 v[4:5], s[2:3]
	s_and_not1_b32 vcc_lo, exec_lo, s6
	s_cbranch_vccnz .LBB43_4
; %bb.3:
	s_wait_xcnt 0x0
	v_mov_b32_e32 v1, 0
	flat_load_b64 v[4:5], v1, s[2:3]
.LBB43_4:
	s_wait_loadcnt_dscnt 0x0
	v_cmp_neq_f64_e32 vcc_lo, 0, v[2:3]
	s_delay_alu instid0(VALU_DEP_2) | instskip(SKIP_1) | instid1(SALU_CYCLE_1)
	v_cmp_neq_f64_e64 s2, 1.0, v[4:5]
	s_or_b32 s2, vcc_lo, s2
	s_and_saveexec_b32 s3, s2
	s_cbranch_execz .LBB43_24
; %bb.5:
	s_load_b64 s[10:11], s[0:1], 0x28
	v_lshrrev_b32_e32 v8, 5, v0
	s_wait_kmcnt 0x0
	s_delay_alu instid0(VALU_DEP_1)
	v_cmp_gt_i32_e32 vcc_lo, s10, v8
	s_and_b32 exec_lo, exec_lo, vcc_lo
	s_cbranch_execz .LBB43_24
; %bb.6:
	s_load_b128 s[4:7], s[0:1], 0x10
	s_bfe_u32 s2, ttmp6, 0x4000c
	s_and_b32 s3, ttmp6, 15
	s_add_co_i32 s2, s2, 1
	s_getreg_b32 s9, hwreg(HW_REG_IB_STS2, 6, 4)
	s_mul_i32 s2, ttmp9, s2
	v_and_b32_e32 v9, 31, v0
	s_add_co_i32 s3, s3, s2
	s_cmp_eq_u32 s9, 0
	v_mbcnt_lo_u32_b32 v0, -1, 0
	s_cselect_b32 s16, ttmp9, s3
	s_mul_i32 s23, s11, s10
	s_ashr_i32 s17, s16, 31
	s_delay_alu instid0(SALU_CYCLE_1)
	s_lshl_b64 s[2:3], s[16:17], 2
	s_load_b32 s17, s[0:1], 0x4
	v_xor_b32_e32 v6, 8, v0
	v_xor_b32_e32 v1, 16, v0
	;; [unrolled: 1-line block ×4, first 2 shown]
	s_wait_kmcnt 0x0
	s_add_nc_u64 s[2:3], s[4:5], s[2:3]
	v_cmp_gt_i32_e32 vcc_lo, 32, v1
	s_load_b64 s[20:21], s[2:3], 0x0
	s_clause 0x2
	s_load_b64 s[4:5], s[0:1], 0x20
	s_load_b64 s[12:13], s[0:1], 0x30
	;; [unrolled: 1-line block ×3, first 2 shown]
	s_wait_xcnt 0x0
	v_cmp_eq_f64_e64 s0, 0, v[4:5]
	s_mov_b32 s3, 0
	v_cndmask_b32_e32 v1, v0, v1, vcc_lo
	v_cmp_gt_i32_e64 s1, s11, v9
	v_cmp_eq_u32_e64 s2, 31, v9
	s_delay_alu instid0(VALU_DEP_3)
	v_lshlrev_b32_e32 v10, 2, v1
	v_cmp_gt_i32_e32 vcc_lo, 32, v6
	v_cndmask_b32_e32 v6, v0, v6, vcc_lo
	v_cmp_gt_i32_e32 vcc_lo, 32, v7
	s_wait_kmcnt 0x0
	s_sub_co_i32 s9, s20, s8
	v_cndmask_b32_e32 v7, v0, v7, vcc_lo
	v_mad_u32 v1, s10, s9, v8
	v_xor_b32_e32 v12, 1, v0
	v_cmp_gt_i32_e32 vcc_lo, 32, v11
	s_sub_co_i32 s18, s21, s8
	v_lshlrev_b32_e32 v13, 2, v7
	s_cmp_lt_i32 s20, s21
	s_mul_i32 s21, s10, s16
	v_cndmask_b32_e32 v14, v0, v11, vcc_lo
	v_cmp_gt_i32_e32 vcc_lo, 32, v12
	s_cselect_b32 s19, -1, 0
	s_cmp_lg_u32 s17, 0
	v_mul_lo_u32 v11, s11, v1
	s_cselect_b32 s20, -1, 0
	v_dual_cndmask_b32 v0, v0, v12, vcc_lo :: v_dual_lshlrev_b32 v12, 2, v6
	v_lshlrev_b32_e32 v14, 2, v14
	s_lshl_b32 s22, s11, 4
	s_delay_alu instid0(VALU_DEP_2)
	v_lshlrev_b32_e32 v15, 2, v0
	s_branch .LBB43_8
.LBB43_7:                               ;   in Loop: Header=BB43_8 Depth=1
	s_wait_xcnt 0x0
	s_or_b32 exec_lo, exec_lo, s16
	v_dual_add_nc_u32 v8, 16, v8 :: v_dual_add_nc_u32 v11, s22, v11
	s_delay_alu instid0(VALU_DEP_1) | instskip(SKIP_1) | instid1(SALU_CYCLE_1)
	v_cmp_le_i32_e32 vcc_lo, s10, v8
	s_or_b32 s3, vcc_lo, s3
	s_and_not1_b32 exec_lo, exec_lo, s3
	s_cbranch_execz .LBB43_24
.LBB43_8:                               ; =>This Loop Header: Depth=1
                                        ;     Child Loop BB43_12 Depth 2
                                        ;       Child Loop BB43_15 Depth 3
	v_mov_b64_e32 v[0:1], 0
	s_and_not1_b32 vcc_lo, exec_lo, s19
	s_cbranch_vccnz .LBB43_19
; %bb.9:                                ;   in Loop: Header=BB43_8 Depth=1
	v_mov_b64_e32 v[0:1], 0
	s_wait_dscnt 0x1
	v_mov_b32_e32 v6, v11
	s_mov_b32 s16, s9
	s_branch .LBB43_12
.LBB43_10:                              ;   in Loop: Header=BB43_12 Depth=2
	s_or_b32 exec_lo, exec_lo, s25
.LBB43_11:                              ;   in Loop: Header=BB43_12 Depth=2
	s_delay_alu instid0(SALU_CYCLE_1) | instskip(SKIP_2) | instid1(SALU_CYCLE_1)
	s_or_b32 exec_lo, exec_lo, s24
	v_add_nc_u32_e32 v6, s23, v6
	s_add_co_i32 s16, s16, 1
	s_cmp_ge_i32 s16, s18
	s_cbranch_scc1 .LBB43_19
.LBB43_12:                              ;   Parent Loop BB43_8 Depth=1
                                        ; =>  This Loop Header: Depth=2
                                        ;       Child Loop BB43_15 Depth 3
	s_and_saveexec_b32 s24, s1
	s_cbranch_execz .LBB43_11
; %bb.13:                               ;   in Loop: Header=BB43_12 Depth=2
	s_ashr_i32 s17, s16, 31
	s_wait_dscnt 0x0
	v_mov_b32_e32 v7, v9
	s_lshl_b64 s[26:27], s[16:17], 2
	s_mov_b32 s25, 0
	s_add_nc_u64 s[26:27], s[6:7], s[26:27]
	s_load_b32 s17, s[26:27], 0x0
	s_wait_kmcnt 0x0
	s_wait_xcnt 0x0
	s_sub_co_i32 s26, s17, s8
	s_mul_i32 s17, s16, s11
	s_mul_i32 s26, s26, s11
	s_branch .LBB43_15
.LBB43_14:                              ;   in Loop: Header=BB43_15 Depth=3
	v_dual_add_nc_u32 v17, s26, v7 :: v_dual_add_nc_u32 v7, 32, v7
	global_load_b64 v[18:19], v16, s[4:5] scale_offset
	global_load_b64 v[20:21], v17, s[12:13] scale_offset
	v_cmp_le_i32_e32 vcc_lo, s11, v7
	s_or_b32 s25, vcc_lo, s25
	s_wait_loadcnt 0x0
	v_fmac_f64_e32 v[0:1], v[18:19], v[20:21]
	s_wait_xcnt 0x0
	s_and_not1_b32 exec_lo, exec_lo, s25
	s_cbranch_execz .LBB43_10
.LBB43_15:                              ;   Parent Loop BB43_8 Depth=1
                                        ;     Parent Loop BB43_12 Depth=2
                                        ; =>    This Inner Loop Header: Depth=3
	s_and_b32 vcc_lo, exec_lo, s20
	s_cbranch_vccz .LBB43_17
; %bb.16:                               ;   in Loop: Header=BB43_15 Depth=3
	v_add_nc_u32_e32 v16, s17, v7
	s_delay_alu instid0(VALU_DEP_1)
	v_mad_u32 v16, v16, s10, v8
	s_cbranch_execnz .LBB43_14
	s_branch .LBB43_18
.LBB43_17:                              ;   in Loop: Header=BB43_15 Depth=3
                                        ; implicit-def: $vgpr16
.LBB43_18:                              ;   in Loop: Header=BB43_15 Depth=3
	v_add_nc_u32_e32 v16, v6, v7
	s_branch .LBB43_14
.LBB43_19:                              ;   in Loop: Header=BB43_8 Depth=1
	s_wait_dscnt 0x1
	ds_bpermute_b32 v6, v10, v0
	s_wait_dscnt 0x1
	ds_bpermute_b32 v7, v10, v1
	s_wait_dscnt 0x0
	v_add_f64_e32 v[0:1], v[0:1], v[6:7]
	ds_bpermute_b32 v6, v12, v0
	ds_bpermute_b32 v7, v12, v1
	s_wait_dscnt 0x0
	v_add_f64_e32 v[0:1], v[0:1], v[6:7]
	ds_bpermute_b32 v6, v13, v0
	;; [unrolled: 4-line block ×4, first 2 shown]
	ds_bpermute_b32 v7, v15, v1
	s_and_saveexec_b32 s16, s2
	s_cbranch_execz .LBB43_7
; %bb.20:                               ;   in Loop: Header=BB43_8 Depth=1
	s_wait_dscnt 0x0
	v_dual_add_f64 v[0:1], v[0:1], v[6:7] :: v_dual_add_nc_u32 v6, s21, v8
	s_delay_alu instid0(VALU_DEP_1) | instskip(SKIP_1) | instid1(SALU_CYCLE_1)
	v_mul_f64_e32 v[0:1], v[2:3], v[0:1]
	s_and_saveexec_b32 s17, s0
	s_xor_b32 s17, exec_lo, s17
	s_cbranch_execz .LBB43_22
; %bb.21:                               ;   in Loop: Header=BB43_8 Depth=1
	global_store_b64 v6, v[0:1], s[14:15] scale_offset
                                        ; implicit-def: $vgpr6
                                        ; implicit-def: $vgpr0_vgpr1
.LBB43_22:                              ;   in Loop: Header=BB43_8 Depth=1
	s_wait_xcnt 0x0
	s_and_not1_saveexec_b32 s17, s17
	s_cbranch_execz .LBB43_7
; %bb.23:                               ;   in Loop: Header=BB43_8 Depth=1
	global_load_b64 v[16:17], v6, s[14:15] scale_offset
	s_wait_loadcnt 0x0
	v_fmac_f64_e32 v[0:1], v[4:5], v[16:17]
	global_store_b64 v6, v[0:1], s[14:15] scale_offset
	s_branch .LBB43_7
.LBB43_24:
	s_endpgm
	.section	.rodata,"a",@progbits
	.p2align	6, 0x0
	.amdhsa_kernel _ZN9rocsparseL23gebsrmvn_general_kernelILj512ELj32EdEEvi20rocsparse_direction_NS_24const_host_device_scalarIT1_EEPKiS6_PKS3_iiS8_S4_PS3_21rocsparse_index_base_b
		.amdhsa_group_segment_fixed_size 0
		.amdhsa_private_segment_fixed_size 0
		.amdhsa_kernarg_size 80
		.amdhsa_user_sgpr_count 2
		.amdhsa_user_sgpr_dispatch_ptr 0
		.amdhsa_user_sgpr_queue_ptr 0
		.amdhsa_user_sgpr_kernarg_segment_ptr 1
		.amdhsa_user_sgpr_dispatch_id 0
		.amdhsa_user_sgpr_kernarg_preload_length 0
		.amdhsa_user_sgpr_kernarg_preload_offset 0
		.amdhsa_user_sgpr_private_segment_size 0
		.amdhsa_wavefront_size32 1
		.amdhsa_uses_dynamic_stack 0
		.amdhsa_enable_private_segment 0
		.amdhsa_system_sgpr_workgroup_id_x 1
		.amdhsa_system_sgpr_workgroup_id_y 0
		.amdhsa_system_sgpr_workgroup_id_z 0
		.amdhsa_system_sgpr_workgroup_info 0
		.amdhsa_system_vgpr_workitem_id 0
		.amdhsa_next_free_vgpr 22
		.amdhsa_next_free_sgpr 28
		.amdhsa_named_barrier_count 0
		.amdhsa_reserve_vcc 1
		.amdhsa_float_round_mode_32 0
		.amdhsa_float_round_mode_16_64 0
		.amdhsa_float_denorm_mode_32 3
		.amdhsa_float_denorm_mode_16_64 3
		.amdhsa_fp16_overflow 0
		.amdhsa_memory_ordered 1
		.amdhsa_forward_progress 1
		.amdhsa_inst_pref_size 8
		.amdhsa_round_robin_scheduling 0
		.amdhsa_exception_fp_ieee_invalid_op 0
		.amdhsa_exception_fp_denorm_src 0
		.amdhsa_exception_fp_ieee_div_zero 0
		.amdhsa_exception_fp_ieee_overflow 0
		.amdhsa_exception_fp_ieee_underflow 0
		.amdhsa_exception_fp_ieee_inexact 0
		.amdhsa_exception_int_div_zero 0
	.end_amdhsa_kernel
	.section	.text._ZN9rocsparseL23gebsrmvn_general_kernelILj512ELj32EdEEvi20rocsparse_direction_NS_24const_host_device_scalarIT1_EEPKiS6_PKS3_iiS8_S4_PS3_21rocsparse_index_base_b,"axG",@progbits,_ZN9rocsparseL23gebsrmvn_general_kernelILj512ELj32EdEEvi20rocsparse_direction_NS_24const_host_device_scalarIT1_EEPKiS6_PKS3_iiS8_S4_PS3_21rocsparse_index_base_b,comdat
.Lfunc_end43:
	.size	_ZN9rocsparseL23gebsrmvn_general_kernelILj512ELj32EdEEvi20rocsparse_direction_NS_24const_host_device_scalarIT1_EEPKiS6_PKS3_iiS8_S4_PS3_21rocsparse_index_base_b, .Lfunc_end43-_ZN9rocsparseL23gebsrmvn_general_kernelILj512ELj32EdEEvi20rocsparse_direction_NS_24const_host_device_scalarIT1_EEPKiS6_PKS3_iiS8_S4_PS3_21rocsparse_index_base_b
                                        ; -- End function
	.set _ZN9rocsparseL23gebsrmvn_general_kernelILj512ELj32EdEEvi20rocsparse_direction_NS_24const_host_device_scalarIT1_EEPKiS6_PKS3_iiS8_S4_PS3_21rocsparse_index_base_b.num_vgpr, 22
	.set _ZN9rocsparseL23gebsrmvn_general_kernelILj512ELj32EdEEvi20rocsparse_direction_NS_24const_host_device_scalarIT1_EEPKiS6_PKS3_iiS8_S4_PS3_21rocsparse_index_base_b.num_agpr, 0
	.set _ZN9rocsparseL23gebsrmvn_general_kernelILj512ELj32EdEEvi20rocsparse_direction_NS_24const_host_device_scalarIT1_EEPKiS6_PKS3_iiS8_S4_PS3_21rocsparse_index_base_b.numbered_sgpr, 28
	.set _ZN9rocsparseL23gebsrmvn_general_kernelILj512ELj32EdEEvi20rocsparse_direction_NS_24const_host_device_scalarIT1_EEPKiS6_PKS3_iiS8_S4_PS3_21rocsparse_index_base_b.num_named_barrier, 0
	.set _ZN9rocsparseL23gebsrmvn_general_kernelILj512ELj32EdEEvi20rocsparse_direction_NS_24const_host_device_scalarIT1_EEPKiS6_PKS3_iiS8_S4_PS3_21rocsparse_index_base_b.private_seg_size, 0
	.set _ZN9rocsparseL23gebsrmvn_general_kernelILj512ELj32EdEEvi20rocsparse_direction_NS_24const_host_device_scalarIT1_EEPKiS6_PKS3_iiS8_S4_PS3_21rocsparse_index_base_b.uses_vcc, 1
	.set _ZN9rocsparseL23gebsrmvn_general_kernelILj512ELj32EdEEvi20rocsparse_direction_NS_24const_host_device_scalarIT1_EEPKiS6_PKS3_iiS8_S4_PS3_21rocsparse_index_base_b.uses_flat_scratch, 0
	.set _ZN9rocsparseL23gebsrmvn_general_kernelILj512ELj32EdEEvi20rocsparse_direction_NS_24const_host_device_scalarIT1_EEPKiS6_PKS3_iiS8_S4_PS3_21rocsparse_index_base_b.has_dyn_sized_stack, 0
	.set _ZN9rocsparseL23gebsrmvn_general_kernelILj512ELj32EdEEvi20rocsparse_direction_NS_24const_host_device_scalarIT1_EEPKiS6_PKS3_iiS8_S4_PS3_21rocsparse_index_base_b.has_recursion, 0
	.set _ZN9rocsparseL23gebsrmvn_general_kernelILj512ELj32EdEEvi20rocsparse_direction_NS_24const_host_device_scalarIT1_EEPKiS6_PKS3_iiS8_S4_PS3_21rocsparse_index_base_b.has_indirect_call, 0
	.section	.AMDGPU.csdata,"",@progbits
; Kernel info:
; codeLenInByte = 972
; TotalNumSgprs: 30
; NumVgprs: 22
; ScratchSize: 0
; MemoryBound: 0
; FloatMode: 240
; IeeeMode: 1
; LDSByteSize: 0 bytes/workgroup (compile time only)
; SGPRBlocks: 0
; VGPRBlocks: 1
; NumSGPRsForWavesPerEU: 30
; NumVGPRsForWavesPerEU: 22
; NamedBarCnt: 0
; Occupancy: 16
; WaveLimiterHint : 1
; COMPUTE_PGM_RSRC2:SCRATCH_EN: 0
; COMPUTE_PGM_RSRC2:USER_SGPR: 2
; COMPUTE_PGM_RSRC2:TRAP_HANDLER: 0
; COMPUTE_PGM_RSRC2:TGID_X_EN: 1
; COMPUTE_PGM_RSRC2:TGID_Y_EN: 0
; COMPUTE_PGM_RSRC2:TGID_Z_EN: 0
; COMPUTE_PGM_RSRC2:TIDIG_COMP_CNT: 0
	.section	.text._ZN9rocsparseL22gebsrmvn_mxn_16_kernelILj56ELj14ELj1EdEEvi20rocsparse_direction_NS_24const_host_device_scalarIT2_EEPKiS6_PKS3_iiS8_S4_PS3_21rocsparse_index_base_b,"axG",@progbits,_ZN9rocsparseL22gebsrmvn_mxn_16_kernelILj56ELj14ELj1EdEEvi20rocsparse_direction_NS_24const_host_device_scalarIT2_EEPKiS6_PKS3_iiS8_S4_PS3_21rocsparse_index_base_b,comdat
	.globl	_ZN9rocsparseL22gebsrmvn_mxn_16_kernelILj56ELj14ELj1EdEEvi20rocsparse_direction_NS_24const_host_device_scalarIT2_EEPKiS6_PKS3_iiS8_S4_PS3_21rocsparse_index_base_b ; -- Begin function _ZN9rocsparseL22gebsrmvn_mxn_16_kernelILj56ELj14ELj1EdEEvi20rocsparse_direction_NS_24const_host_device_scalarIT2_EEPKiS6_PKS3_iiS8_S4_PS3_21rocsparse_index_base_b
	.p2align	8
	.type	_ZN9rocsparseL22gebsrmvn_mxn_16_kernelILj56ELj14ELj1EdEEvi20rocsparse_direction_NS_24const_host_device_scalarIT2_EEPKiS6_PKS3_iiS8_S4_PS3_21rocsparse_index_base_b,@function
_ZN9rocsparseL22gebsrmvn_mxn_16_kernelILj56ELj14ELj1EdEEvi20rocsparse_direction_NS_24const_host_device_scalarIT2_EEPKiS6_PKS3_iiS8_S4_PS3_21rocsparse_index_base_b: ; @_ZN9rocsparseL22gebsrmvn_mxn_16_kernelILj56ELj14ELj1EdEEvi20rocsparse_direction_NS_24const_host_device_scalarIT2_EEPKiS6_PKS3_iiS8_S4_PS3_21rocsparse_index_base_b
; %bb.0:
	s_clause 0x2
	s_load_b64 s[10:11], s[0:1], 0x48
	s_load_b64 s[4:5], s[0:1], 0x8
	;; [unrolled: 1-line block ×3, first 2 shown]
	s_wait_kmcnt 0x0
	s_bitcmp1_b32 s11, 0
	v_mov_b64_e32 v[4:5], s[4:5]
	s_cselect_b32 s6, -1, 0
	s_delay_alu instid0(SALU_CYCLE_1)
	s_and_b32 vcc_lo, exec_lo, s6
	s_xor_b32 s6, s6, -1
	s_cbranch_vccnz .LBB44_2
; %bb.1:
	v_mov_b32_e32 v1, 0
	flat_load_b64 v[4:5], v1, s[4:5]
.LBB44_2:
	v_mov_b64_e32 v[2:3], s[2:3]
	s_and_not1_b32 vcc_lo, exec_lo, s6
	s_cbranch_vccnz .LBB44_4
; %bb.3:
	s_wait_xcnt 0x0
	v_mov_b32_e32 v1, 0
	flat_load_b64 v[2:3], v1, s[2:3]
.LBB44_4:
	s_wait_loadcnt_dscnt 0x0
	v_cmp_neq_f64_e32 vcc_lo, 0, v[4:5]
	s_delay_alu instid0(VALU_DEP_2) | instskip(SKIP_1) | instid1(SALU_CYCLE_1)
	v_cmp_neq_f64_e64 s2, 1.0, v[2:3]
	s_or_b32 s2, vcc_lo, s2
	s_and_saveexec_b32 s3, s2
	s_cbranch_execz .LBB44_21
; %bb.5:
	s_load_b64 s[2:3], s[0:1], 0x10
	s_bfe_u32 s4, ttmp6, 0x4000c
	s_and_b32 s5, ttmp6, 15
	s_add_co_i32 s4, s4, 1
	s_getreg_b32 s6, hwreg(HW_REG_IB_STS2, 6, 4)
	s_mul_i32 s4, ttmp9, s4
	s_delay_alu instid0(SALU_CYCLE_1) | instskip(SKIP_2) | instid1(SALU_CYCLE_1)
	s_add_co_i32 s5, s5, s4
	s_cmp_eq_u32 s6, 0
	s_cselect_b32 s8, ttmp9, s5
	s_ashr_i32 s9, s8, 31
	s_delay_alu instid0(SALU_CYCLE_1)
	s_lshl_b64 s[4:5], s[8:9], 2
	s_wait_kmcnt 0x0
	s_add_nc_u64 s[2:3], s[2:3], s[4:5]
	s_mov_b32 s4, 0
	s_load_b64 s[14:15], s[2:3], 0x0
	s_wait_kmcnt 0x0
	s_cmp_lt_i32 s14, s15
	s_cbranch_scc0 .LBB44_7
; %bb.6:
	s_mov_b32 s4, -1
.LBB44_7:
	s_load_b64 s[2:3], s[0:1], 0x40
	v_mov_b64_e32 v[6:7], 0
	s_and_not1_b32 vcc_lo, exec_lo, s4
	s_cbranch_vccnz .LBB44_12
; %bb.8:
	s_clause 0x1
	s_load_b128 s[4:7], s[0:1], 0x18
	s_load_b64 s[12:13], s[0:1], 0x30
	v_mad_u32 v8, s14, 14, v0
	v_mul_u32_u24_e32 v1, 0x124a, v0
	s_wait_xcnt 0x0
	s_mul_i32 s0, s10, 14
	v_mov_b64_e32 v[6:7], 0
	s_sub_co_i32 s1, s14, s10
	v_lshrrev_b32_e32 v1, 16, v1
	s_delay_alu instid0(VALU_DEP_4)
	v_subrev_nc_u32_e32 v8, s0, v8
	s_sub_co_i32 s0, s15, s10
	s_branch .LBB44_10
.LBB44_9:                               ;   in Loop: Header=BB44_10 Depth=1
	s_or_b32 exec_lo, exec_lo, s9
	v_add_nc_u32_e32 v8, 56, v8
	s_add_co_i32 s1, s1, 4
	s_delay_alu instid0(SALU_CYCLE_1)
	s_cmp_ge_i32 s1, s0
	s_cbranch_scc1 .LBB44_12
.LBB44_10:                              ; =>This Inner Loop Header: Depth=1
	s_delay_alu instid0(VALU_DEP_2) | instskip(SKIP_1) | instid1(VALU_DEP_1)
	v_add_nc_u32_e32 v9, s1, v1
	s_mov_b32 s9, exec_lo
	v_cmpx_gt_i32_e64 s0, v9
	s_cbranch_execz .LBB44_9
; %bb.11:                               ;   in Loop: Header=BB44_10 Depth=1
	s_wait_kmcnt 0x0
	global_load_b32 v9, v9, s[4:5] scale_offset
	s_wait_loadcnt 0x0
	v_subrev_nc_u32_e32 v9, s10, v9
	global_load_b64 v[10:11], v8, s[6:7] scale_offset
	global_load_b64 v[12:13], v9, s[12:13] scale_offset
	s_wait_loadcnt 0x0
	v_fmac_f64_e32 v[6:7], v[10:11], v[12:13]
	s_branch .LBB44_9
.LBB44_12:
	v_lshlrev_b32_e32 v1, 3, v0
	s_wait_xcnt 0x0
	s_mov_b32 s0, exec_lo
	ds_store_b64 v1, v[6:7]
	s_wait_dscnt 0x0
	s_barrier_signal -1
	s_barrier_wait -1
	v_cmpx_gt_u32_e32 28, v0
	s_cbranch_execz .LBB44_14
; %bb.13:
	ds_load_2addr_b64 v[6:9], v1 offset1:28
	s_wait_dscnt 0x0
	v_add_f64_e32 v[6:7], v[8:9], v[6:7]
	ds_store_b64 v1, v[6:7]
.LBB44_14:
	s_or_b32 exec_lo, exec_lo, s0
	v_cmp_gt_u32_e32 vcc_lo, 14, v0
	s_wait_dscnt 0x0
	s_barrier_signal -1
	s_barrier_wait -1
	s_and_saveexec_b32 s0, vcc_lo
	s_cbranch_execz .LBB44_16
; %bb.15:
	ds_load_2addr_b64 v[6:9], v1 offset1:14
	s_wait_dscnt 0x0
	v_add_f64_e32 v[6:7], v[8:9], v[6:7]
	ds_store_b64 v1, v[6:7]
.LBB44_16:
	s_or_b32 exec_lo, exec_lo, s0
	s_wait_dscnt 0x0
	s_barrier_signal -1
	s_barrier_wait -1
	s_and_b32 exec_lo, exec_lo, vcc_lo
	s_cbranch_execz .LBB44_21
; %bb.17:
	ds_load_b64 v[6:7], v1
	v_mad_u32 v0, s8, 14, v0
	s_mov_b32 s0, exec_lo
	s_wait_dscnt 0x0
	v_mul_f64_e32 v[4:5], v[4:5], v[6:7]
	v_cmpx_eq_f64_e32 0, v[2:3]
	s_xor_b32 s0, exec_lo, s0
	s_cbranch_execz .LBB44_19
; %bb.18:
	s_wait_kmcnt 0x0
	global_store_b64 v0, v[4:5], s[2:3] scale_offset
                                        ; implicit-def: $vgpr0
                                        ; implicit-def: $vgpr2_vgpr3
                                        ; implicit-def: $vgpr4_vgpr5
.LBB44_19:
	s_wait_xcnt 0x0
	s_and_not1_saveexec_b32 s0, s0
	s_cbranch_execz .LBB44_21
; %bb.20:
	s_wait_kmcnt 0x0
	global_load_b64 v[6:7], v0, s[2:3] scale_offset
	s_wait_loadcnt 0x0
	v_fmac_f64_e32 v[4:5], v[2:3], v[6:7]
	global_store_b64 v0, v[4:5], s[2:3] scale_offset
.LBB44_21:
	s_endpgm
	.section	.rodata,"a",@progbits
	.p2align	6, 0x0
	.amdhsa_kernel _ZN9rocsparseL22gebsrmvn_mxn_16_kernelILj56ELj14ELj1EdEEvi20rocsparse_direction_NS_24const_host_device_scalarIT2_EEPKiS6_PKS3_iiS8_S4_PS3_21rocsparse_index_base_b
		.amdhsa_group_segment_fixed_size 448
		.amdhsa_private_segment_fixed_size 0
		.amdhsa_kernarg_size 80
		.amdhsa_user_sgpr_count 2
		.amdhsa_user_sgpr_dispatch_ptr 0
		.amdhsa_user_sgpr_queue_ptr 0
		.amdhsa_user_sgpr_kernarg_segment_ptr 1
		.amdhsa_user_sgpr_dispatch_id 0
		.amdhsa_user_sgpr_kernarg_preload_length 0
		.amdhsa_user_sgpr_kernarg_preload_offset 0
		.amdhsa_user_sgpr_private_segment_size 0
		.amdhsa_wavefront_size32 1
		.amdhsa_uses_dynamic_stack 0
		.amdhsa_enable_private_segment 0
		.amdhsa_system_sgpr_workgroup_id_x 1
		.amdhsa_system_sgpr_workgroup_id_y 0
		.amdhsa_system_sgpr_workgroup_id_z 0
		.amdhsa_system_sgpr_workgroup_info 0
		.amdhsa_system_vgpr_workitem_id 0
		.amdhsa_next_free_vgpr 14
		.amdhsa_next_free_sgpr 16
		.amdhsa_named_barrier_count 0
		.amdhsa_reserve_vcc 1
		.amdhsa_float_round_mode_32 0
		.amdhsa_float_round_mode_16_64 0
		.amdhsa_float_denorm_mode_32 3
		.amdhsa_float_denorm_mode_16_64 3
		.amdhsa_fp16_overflow 0
		.amdhsa_memory_ordered 1
		.amdhsa_forward_progress 1
		.amdhsa_inst_pref_size 6
		.amdhsa_round_robin_scheduling 0
		.amdhsa_exception_fp_ieee_invalid_op 0
		.amdhsa_exception_fp_denorm_src 0
		.amdhsa_exception_fp_ieee_div_zero 0
		.amdhsa_exception_fp_ieee_overflow 0
		.amdhsa_exception_fp_ieee_underflow 0
		.amdhsa_exception_fp_ieee_inexact 0
		.amdhsa_exception_int_div_zero 0
	.end_amdhsa_kernel
	.section	.text._ZN9rocsparseL22gebsrmvn_mxn_16_kernelILj56ELj14ELj1EdEEvi20rocsparse_direction_NS_24const_host_device_scalarIT2_EEPKiS6_PKS3_iiS8_S4_PS3_21rocsparse_index_base_b,"axG",@progbits,_ZN9rocsparseL22gebsrmvn_mxn_16_kernelILj56ELj14ELj1EdEEvi20rocsparse_direction_NS_24const_host_device_scalarIT2_EEPKiS6_PKS3_iiS8_S4_PS3_21rocsparse_index_base_b,comdat
.Lfunc_end44:
	.size	_ZN9rocsparseL22gebsrmvn_mxn_16_kernelILj56ELj14ELj1EdEEvi20rocsparse_direction_NS_24const_host_device_scalarIT2_EEPKiS6_PKS3_iiS8_S4_PS3_21rocsparse_index_base_b, .Lfunc_end44-_ZN9rocsparseL22gebsrmvn_mxn_16_kernelILj56ELj14ELj1EdEEvi20rocsparse_direction_NS_24const_host_device_scalarIT2_EEPKiS6_PKS3_iiS8_S4_PS3_21rocsparse_index_base_b
                                        ; -- End function
	.set _ZN9rocsparseL22gebsrmvn_mxn_16_kernelILj56ELj14ELj1EdEEvi20rocsparse_direction_NS_24const_host_device_scalarIT2_EEPKiS6_PKS3_iiS8_S4_PS3_21rocsparse_index_base_b.num_vgpr, 14
	.set _ZN9rocsparseL22gebsrmvn_mxn_16_kernelILj56ELj14ELj1EdEEvi20rocsparse_direction_NS_24const_host_device_scalarIT2_EEPKiS6_PKS3_iiS8_S4_PS3_21rocsparse_index_base_b.num_agpr, 0
	.set _ZN9rocsparseL22gebsrmvn_mxn_16_kernelILj56ELj14ELj1EdEEvi20rocsparse_direction_NS_24const_host_device_scalarIT2_EEPKiS6_PKS3_iiS8_S4_PS3_21rocsparse_index_base_b.numbered_sgpr, 16
	.set _ZN9rocsparseL22gebsrmvn_mxn_16_kernelILj56ELj14ELj1EdEEvi20rocsparse_direction_NS_24const_host_device_scalarIT2_EEPKiS6_PKS3_iiS8_S4_PS3_21rocsparse_index_base_b.num_named_barrier, 0
	.set _ZN9rocsparseL22gebsrmvn_mxn_16_kernelILj56ELj14ELj1EdEEvi20rocsparse_direction_NS_24const_host_device_scalarIT2_EEPKiS6_PKS3_iiS8_S4_PS3_21rocsparse_index_base_b.private_seg_size, 0
	.set _ZN9rocsparseL22gebsrmvn_mxn_16_kernelILj56ELj14ELj1EdEEvi20rocsparse_direction_NS_24const_host_device_scalarIT2_EEPKiS6_PKS3_iiS8_S4_PS3_21rocsparse_index_base_b.uses_vcc, 1
	.set _ZN9rocsparseL22gebsrmvn_mxn_16_kernelILj56ELj14ELj1EdEEvi20rocsparse_direction_NS_24const_host_device_scalarIT2_EEPKiS6_PKS3_iiS8_S4_PS3_21rocsparse_index_base_b.uses_flat_scratch, 0
	.set _ZN9rocsparseL22gebsrmvn_mxn_16_kernelILj56ELj14ELj1EdEEvi20rocsparse_direction_NS_24const_host_device_scalarIT2_EEPKiS6_PKS3_iiS8_S4_PS3_21rocsparse_index_base_b.has_dyn_sized_stack, 0
	.set _ZN9rocsparseL22gebsrmvn_mxn_16_kernelILj56ELj14ELj1EdEEvi20rocsparse_direction_NS_24const_host_device_scalarIT2_EEPKiS6_PKS3_iiS8_S4_PS3_21rocsparse_index_base_b.has_recursion, 0
	.set _ZN9rocsparseL22gebsrmvn_mxn_16_kernelILj56ELj14ELj1EdEEvi20rocsparse_direction_NS_24const_host_device_scalarIT2_EEPKiS6_PKS3_iiS8_S4_PS3_21rocsparse_index_base_b.has_indirect_call, 0
	.section	.AMDGPU.csdata,"",@progbits
; Kernel info:
; codeLenInByte = 684
; TotalNumSgprs: 18
; NumVgprs: 14
; ScratchSize: 0
; MemoryBound: 0
; FloatMode: 240
; IeeeMode: 1
; LDSByteSize: 448 bytes/workgroup (compile time only)
; SGPRBlocks: 0
; VGPRBlocks: 0
; NumSGPRsForWavesPerEU: 18
; NumVGPRsForWavesPerEU: 14
; NamedBarCnt: 0
; Occupancy: 16
; WaveLimiterHint : 1
; COMPUTE_PGM_RSRC2:SCRATCH_EN: 0
; COMPUTE_PGM_RSRC2:USER_SGPR: 2
; COMPUTE_PGM_RSRC2:TRAP_HANDLER: 0
; COMPUTE_PGM_RSRC2:TGID_X_EN: 1
; COMPUTE_PGM_RSRC2:TGID_Y_EN: 0
; COMPUTE_PGM_RSRC2:TGID_Z_EN: 0
; COMPUTE_PGM_RSRC2:TIDIG_COMP_CNT: 0
	.section	.text._ZN9rocsparseL22gebsrmvn_mxn_16_kernelILj56ELj14ELj2EdEEvi20rocsparse_direction_NS_24const_host_device_scalarIT2_EEPKiS6_PKS3_iiS8_S4_PS3_21rocsparse_index_base_b,"axG",@progbits,_ZN9rocsparseL22gebsrmvn_mxn_16_kernelILj56ELj14ELj2EdEEvi20rocsparse_direction_NS_24const_host_device_scalarIT2_EEPKiS6_PKS3_iiS8_S4_PS3_21rocsparse_index_base_b,comdat
	.globl	_ZN9rocsparseL22gebsrmvn_mxn_16_kernelILj56ELj14ELj2EdEEvi20rocsparse_direction_NS_24const_host_device_scalarIT2_EEPKiS6_PKS3_iiS8_S4_PS3_21rocsparse_index_base_b ; -- Begin function _ZN9rocsparseL22gebsrmvn_mxn_16_kernelILj56ELj14ELj2EdEEvi20rocsparse_direction_NS_24const_host_device_scalarIT2_EEPKiS6_PKS3_iiS8_S4_PS3_21rocsparse_index_base_b
	.p2align	8
	.type	_ZN9rocsparseL22gebsrmvn_mxn_16_kernelILj56ELj14ELj2EdEEvi20rocsparse_direction_NS_24const_host_device_scalarIT2_EEPKiS6_PKS3_iiS8_S4_PS3_21rocsparse_index_base_b,@function
_ZN9rocsparseL22gebsrmvn_mxn_16_kernelILj56ELj14ELj2EdEEvi20rocsparse_direction_NS_24const_host_device_scalarIT2_EEPKiS6_PKS3_iiS8_S4_PS3_21rocsparse_index_base_b: ; @_ZN9rocsparseL22gebsrmvn_mxn_16_kernelILj56ELj14ELj2EdEEvi20rocsparse_direction_NS_24const_host_device_scalarIT2_EEPKiS6_PKS3_iiS8_S4_PS3_21rocsparse_index_base_b
; %bb.0:
	s_clause 0x2
	s_load_b64 s[10:11], s[0:1], 0x48
	s_load_b64 s[4:5], s[0:1], 0x8
	;; [unrolled: 1-line block ×3, first 2 shown]
	s_wait_kmcnt 0x0
	s_bitcmp1_b32 s11, 0
	v_mov_b64_e32 v[4:5], s[4:5]
	s_cselect_b32 s6, -1, 0
	s_delay_alu instid0(SALU_CYCLE_1)
	s_and_b32 vcc_lo, exec_lo, s6
	s_xor_b32 s6, s6, -1
	s_cbranch_vccnz .LBB45_2
; %bb.1:
	v_mov_b32_e32 v1, 0
	flat_load_b64 v[4:5], v1, s[4:5]
.LBB45_2:
	v_mov_b64_e32 v[2:3], s[2:3]
	s_and_not1_b32 vcc_lo, exec_lo, s6
	s_cbranch_vccnz .LBB45_4
; %bb.3:
	s_wait_xcnt 0x0
	v_mov_b32_e32 v1, 0
	flat_load_b64 v[2:3], v1, s[2:3]
.LBB45_4:
	s_wait_loadcnt_dscnt 0x0
	v_cmp_neq_f64_e32 vcc_lo, 0, v[4:5]
	s_delay_alu instid0(VALU_DEP_2) | instskip(SKIP_1) | instid1(SALU_CYCLE_1)
	v_cmp_neq_f64_e64 s2, 1.0, v[2:3]
	s_or_b32 s2, vcc_lo, s2
	s_and_saveexec_b32 s3, s2
	s_cbranch_execz .LBB45_31
; %bb.5:
	s_clause 0x1
	s_load_b32 s4, s[0:1], 0x4
	s_load_b64 s[2:3], s[0:1], 0x10
	v_and_b32_e32 v1, 1, v0
	s_delay_alu instid0(VALU_DEP_1) | instskip(SKIP_3) | instid1(SALU_CYCLE_1)
	v_mov_b32_e32 v8, v1
	s_wait_kmcnt 0x0
	s_cmp_lg_u32 s4, 1
	s_cselect_b32 s11, -1, 0
	s_and_b32 vcc_lo, exec_lo, s11
	s_cbranch_vccnz .LBB45_7
; %bb.6:
	v_mul_u32_u24_e32 v6, 0x124a, v0
	s_delay_alu instid0(VALU_DEP_1)
	v_bfe_u32 v8, v6, 16, 1
.LBB45_7:
	s_bfe_u32 s4, ttmp6, 0x4000c
	s_and_b32 s5, ttmp6, 15
	s_add_co_i32 s4, s4, 1
	s_getreg_b32 s6, hwreg(HW_REG_IB_STS2, 6, 4)
	s_mul_i32 s4, ttmp9, s4
	v_mov_b64_e32 v[6:7], 0
	s_add_co_i32 s5, s5, s4
	s_cmp_eq_u32 s6, 0
	s_cselect_b32 s8, ttmp9, s5
	s_delay_alu instid0(SALU_CYCLE_1) | instskip(NEXT) | instid1(SALU_CYCLE_1)
	s_ashr_i32 s9, s8, 31
	s_lshl_b64 s[4:5], s[8:9], 2
	s_delay_alu instid0(SALU_CYCLE_1)
	s_add_nc_u64 s[4:5], s[2:3], s[4:5]
	s_load_b64 s[14:15], s[4:5], 0x0
	s_load_b64 s[2:3], s[0:1], 0x40
	s_wait_kmcnt 0x0
	s_cmp_ge_i32 s14, s15
	s_cbranch_scc1 .LBB45_12
; %bb.8:
	s_clause 0x1
	s_load_b128 s[4:7], s[0:1], 0x18
	s_load_b64 s[12:13], s[0:1], 0x30
	v_mad_u32 v10, s14, 28, v0
	v_mul_u32_u24_e32 v9, 0x925, v0
	s_wait_xcnt 0x0
	s_mul_i32 s0, s10, 28
	v_mov_b64_e32 v[6:7], 0
	s_sub_co_i32 s1, s14, s10
	v_lshrrev_b32_e32 v9, 16, v9
	s_delay_alu instid0(VALU_DEP_4)
	v_subrev_nc_u32_e32 v10, s0, v10
	s_sub_co_i32 s0, s15, s10
	s_branch .LBB45_10
.LBB45_9:                               ;   in Loop: Header=BB45_10 Depth=1
	s_or_b32 exec_lo, exec_lo, s9
	v_add_nc_u32_e32 v10, 56, v10
	s_add_co_i32 s1, s1, 2
	s_delay_alu instid0(SALU_CYCLE_1)
	s_cmp_ge_i32 s1, s0
	s_cbranch_scc1 .LBB45_12
.LBB45_10:                              ; =>This Inner Loop Header: Depth=1
	s_delay_alu instid0(VALU_DEP_2) | instskip(SKIP_1) | instid1(VALU_DEP_1)
	v_add_nc_u32_e32 v11, s1, v9
	s_mov_b32 s9, exec_lo
	v_cmpx_gt_i32_e64 s0, v11
	s_cbranch_execz .LBB45_9
; %bb.11:                               ;   in Loop: Header=BB45_10 Depth=1
	s_wait_kmcnt 0x0
	global_load_b32 v11, v11, s[4:5] scale_offset
	s_wait_loadcnt 0x0
	v_subrev_nc_u32_e32 v11, s10, v11
	s_delay_alu instid0(VALU_DEP_1)
	v_lshl_or_b32 v11, v11, 1, v8
	global_load_b64 v[12:13], v10, s[6:7] scale_offset
	global_load_b64 v[14:15], v11, s[12:13] scale_offset
	s_wait_loadcnt 0x0
	v_fmac_f64_e32 v[6:7], v[12:13], v[14:15]
	s_branch .LBB45_9
.LBB45_12:
	v_lshlrev_b32_e32 v10, 3, v0
	s_mov_b32 s0, exec_lo
	ds_store_b64 v10, v[6:7]
	s_wait_dscnt 0x0
	s_barrier_signal -1
	s_barrier_wait -1
	v_cmpx_gt_u32_e32 28, v0
	s_cbranch_execz .LBB45_14
; %bb.13:
	ds_load_2addr_b64 v[12:15], v10 offset1:28
	s_wait_dscnt 0x0
	v_add_f64_e32 v[8:9], v[14:15], v[12:13]
	ds_store_b64 v10, v[8:9]
.LBB45_14:
	s_or_b32 exec_lo, exec_lo, s0
	s_delay_alu instid0(SALU_CYCLE_1)
	s_and_b32 vcc_lo, exec_lo, s11
	s_wait_dscnt 0x0
	s_barrier_signal -1
	s_barrier_wait -1
	s_cbranch_vccz .LBB45_20
; %bb.15:
	s_mov_b32 s0, exec_lo
	v_cmpx_eq_u32_e32 0, v1
	s_cbranch_execz .LBB45_17
; %bb.16:
	ds_load_2addr_b64 v[12:15], v10 offset1:1
	s_wait_dscnt 0x0
	v_add_f64_e32 v[8:9], v[14:15], v[12:13]
	ds_store_b64 v10, v[8:9]
.LBB45_17:
	s_or_b32 exec_lo, exec_lo, s0
	v_mov_b64_e32 v[8:9], v[6:7]
	s_mov_b32 s0, exec_lo
	s_wait_dscnt 0x0
	s_barrier_signal -1
	s_barrier_wait -1
	v_cmpx_gt_u32_e32 14, v0
; %bb.18:
	v_lshl_add_u32 v1, v0, 3, v10
	ds_load_b64 v[8:9], v1
; %bb.19:
	s_or_b32 exec_lo, exec_lo, s0
	s_branch .LBB45_26
.LBB45_20:
                                        ; implicit-def: $vgpr8_vgpr9
	s_cbranch_execz .LBB45_26
; %bb.21:
	s_mov_b32 s0, exec_lo
	v_cmpx_lt_u32_e32 13, v0
	s_xor_b32 s0, exec_lo, s0
	s_cbranch_execz .LBB45_23
; %bb.22:
	s_wait_dscnt 0x0
                                        ; implicit-def: $vgpr10
.LBB45_23:
	s_and_not1_saveexec_b32 s0, s0
	s_cbranch_execz .LBB45_25
; %bb.24:
	s_wait_dscnt 0x0
	ds_load_2addr_b64 v[6:9], v10 offset1:14
	s_wait_dscnt 0x0
	v_add_f64_e32 v[6:7], v[8:9], v[6:7]
	ds_store_b64 v10, v[6:7]
	s_wait_dscnt 0x0
	ds_load_b64 v[6:7], v10
.LBB45_25:
	s_or_b32 exec_lo, exec_lo, s0
	s_wait_dscnt 0x0
	v_mov_b64_e32 v[8:9], v[6:7]
.LBB45_26:
	v_cmp_gt_u32_e32 vcc_lo, 14, v0
	s_and_b32 exec_lo, exec_lo, vcc_lo
	s_cbranch_execz .LBB45_31
; %bb.27:
	s_wait_dscnt 0x0
	s_delay_alu instid0(VALU_DEP_2)
	v_mul_f64_e32 v[4:5], v[4:5], v[8:9]
	v_mad_u32 v0, s8, 14, v0
	s_mov_b32 s0, exec_lo
	v_cmpx_eq_f64_e32 0, v[2:3]
	s_xor_b32 s0, exec_lo, s0
	s_cbranch_execz .LBB45_29
; %bb.28:
	global_store_b64 v0, v[4:5], s[2:3] scale_offset
                                        ; implicit-def: $vgpr0
                                        ; implicit-def: $vgpr2_vgpr3
                                        ; implicit-def: $vgpr4_vgpr5
.LBB45_29:
	s_wait_xcnt 0x0
	s_and_not1_saveexec_b32 s0, s0
	s_cbranch_execz .LBB45_31
; %bb.30:
	global_load_b64 v[6:7], v0, s[2:3] scale_offset
	s_wait_loadcnt 0x0
	v_fmac_f64_e32 v[4:5], v[2:3], v[6:7]
	global_store_b64 v0, v[4:5], s[2:3] scale_offset
.LBB45_31:
	s_endpgm
	.section	.rodata,"a",@progbits
	.p2align	6, 0x0
	.amdhsa_kernel _ZN9rocsparseL22gebsrmvn_mxn_16_kernelILj56ELj14ELj2EdEEvi20rocsparse_direction_NS_24const_host_device_scalarIT2_EEPKiS6_PKS3_iiS8_S4_PS3_21rocsparse_index_base_b
		.amdhsa_group_segment_fixed_size 448
		.amdhsa_private_segment_fixed_size 0
		.amdhsa_kernarg_size 80
		.amdhsa_user_sgpr_count 2
		.amdhsa_user_sgpr_dispatch_ptr 0
		.amdhsa_user_sgpr_queue_ptr 0
		.amdhsa_user_sgpr_kernarg_segment_ptr 1
		.amdhsa_user_sgpr_dispatch_id 0
		.amdhsa_user_sgpr_kernarg_preload_length 0
		.amdhsa_user_sgpr_kernarg_preload_offset 0
		.amdhsa_user_sgpr_private_segment_size 0
		.amdhsa_wavefront_size32 1
		.amdhsa_uses_dynamic_stack 0
		.amdhsa_enable_private_segment 0
		.amdhsa_system_sgpr_workgroup_id_x 1
		.amdhsa_system_sgpr_workgroup_id_y 0
		.amdhsa_system_sgpr_workgroup_id_z 0
		.amdhsa_system_sgpr_workgroup_info 0
		.amdhsa_system_vgpr_workitem_id 0
		.amdhsa_next_free_vgpr 16
		.amdhsa_next_free_sgpr 16
		.amdhsa_named_barrier_count 0
		.amdhsa_reserve_vcc 1
		.amdhsa_float_round_mode_32 0
		.amdhsa_float_round_mode_16_64 0
		.amdhsa_float_denorm_mode_32 3
		.amdhsa_float_denorm_mode_16_64 3
		.amdhsa_fp16_overflow 0
		.amdhsa_memory_ordered 1
		.amdhsa_forward_progress 1
		.amdhsa_inst_pref_size 7
		.amdhsa_round_robin_scheduling 0
		.amdhsa_exception_fp_ieee_invalid_op 0
		.amdhsa_exception_fp_denorm_src 0
		.amdhsa_exception_fp_ieee_div_zero 0
		.amdhsa_exception_fp_ieee_overflow 0
		.amdhsa_exception_fp_ieee_underflow 0
		.amdhsa_exception_fp_ieee_inexact 0
		.amdhsa_exception_int_div_zero 0
	.end_amdhsa_kernel
	.section	.text._ZN9rocsparseL22gebsrmvn_mxn_16_kernelILj56ELj14ELj2EdEEvi20rocsparse_direction_NS_24const_host_device_scalarIT2_EEPKiS6_PKS3_iiS8_S4_PS3_21rocsparse_index_base_b,"axG",@progbits,_ZN9rocsparseL22gebsrmvn_mxn_16_kernelILj56ELj14ELj2EdEEvi20rocsparse_direction_NS_24const_host_device_scalarIT2_EEPKiS6_PKS3_iiS8_S4_PS3_21rocsparse_index_base_b,comdat
.Lfunc_end45:
	.size	_ZN9rocsparseL22gebsrmvn_mxn_16_kernelILj56ELj14ELj2EdEEvi20rocsparse_direction_NS_24const_host_device_scalarIT2_EEPKiS6_PKS3_iiS8_S4_PS3_21rocsparse_index_base_b, .Lfunc_end45-_ZN9rocsparseL22gebsrmvn_mxn_16_kernelILj56ELj14ELj2EdEEvi20rocsparse_direction_NS_24const_host_device_scalarIT2_EEPKiS6_PKS3_iiS8_S4_PS3_21rocsparse_index_base_b
                                        ; -- End function
	.set _ZN9rocsparseL22gebsrmvn_mxn_16_kernelILj56ELj14ELj2EdEEvi20rocsparse_direction_NS_24const_host_device_scalarIT2_EEPKiS6_PKS3_iiS8_S4_PS3_21rocsparse_index_base_b.num_vgpr, 16
	.set _ZN9rocsparseL22gebsrmvn_mxn_16_kernelILj56ELj14ELj2EdEEvi20rocsparse_direction_NS_24const_host_device_scalarIT2_EEPKiS6_PKS3_iiS8_S4_PS3_21rocsparse_index_base_b.num_agpr, 0
	.set _ZN9rocsparseL22gebsrmvn_mxn_16_kernelILj56ELj14ELj2EdEEvi20rocsparse_direction_NS_24const_host_device_scalarIT2_EEPKiS6_PKS3_iiS8_S4_PS3_21rocsparse_index_base_b.numbered_sgpr, 16
	.set _ZN9rocsparseL22gebsrmvn_mxn_16_kernelILj56ELj14ELj2EdEEvi20rocsparse_direction_NS_24const_host_device_scalarIT2_EEPKiS6_PKS3_iiS8_S4_PS3_21rocsparse_index_base_b.num_named_barrier, 0
	.set _ZN9rocsparseL22gebsrmvn_mxn_16_kernelILj56ELj14ELj2EdEEvi20rocsparse_direction_NS_24const_host_device_scalarIT2_EEPKiS6_PKS3_iiS8_S4_PS3_21rocsparse_index_base_b.private_seg_size, 0
	.set _ZN9rocsparseL22gebsrmvn_mxn_16_kernelILj56ELj14ELj2EdEEvi20rocsparse_direction_NS_24const_host_device_scalarIT2_EEPKiS6_PKS3_iiS8_S4_PS3_21rocsparse_index_base_b.uses_vcc, 1
	.set _ZN9rocsparseL22gebsrmvn_mxn_16_kernelILj56ELj14ELj2EdEEvi20rocsparse_direction_NS_24const_host_device_scalarIT2_EEPKiS6_PKS3_iiS8_S4_PS3_21rocsparse_index_base_b.uses_flat_scratch, 0
	.set _ZN9rocsparseL22gebsrmvn_mxn_16_kernelILj56ELj14ELj2EdEEvi20rocsparse_direction_NS_24const_host_device_scalarIT2_EEPKiS6_PKS3_iiS8_S4_PS3_21rocsparse_index_base_b.has_dyn_sized_stack, 0
	.set _ZN9rocsparseL22gebsrmvn_mxn_16_kernelILj56ELj14ELj2EdEEvi20rocsparse_direction_NS_24const_host_device_scalarIT2_EEPKiS6_PKS3_iiS8_S4_PS3_21rocsparse_index_base_b.has_recursion, 0
	.set _ZN9rocsparseL22gebsrmvn_mxn_16_kernelILj56ELj14ELj2EdEEvi20rocsparse_direction_NS_24const_host_device_scalarIT2_EEPKiS6_PKS3_iiS8_S4_PS3_21rocsparse_index_base_b.has_indirect_call, 0
	.section	.AMDGPU.csdata,"",@progbits
; Kernel info:
; codeLenInByte = 860
; TotalNumSgprs: 18
; NumVgprs: 16
; ScratchSize: 0
; MemoryBound: 0
; FloatMode: 240
; IeeeMode: 1
; LDSByteSize: 448 bytes/workgroup (compile time only)
; SGPRBlocks: 0
; VGPRBlocks: 0
; NumSGPRsForWavesPerEU: 18
; NumVGPRsForWavesPerEU: 16
; NamedBarCnt: 0
; Occupancy: 16
; WaveLimiterHint : 1
; COMPUTE_PGM_RSRC2:SCRATCH_EN: 0
; COMPUTE_PGM_RSRC2:USER_SGPR: 2
; COMPUTE_PGM_RSRC2:TRAP_HANDLER: 0
; COMPUTE_PGM_RSRC2:TGID_X_EN: 1
; COMPUTE_PGM_RSRC2:TGID_Y_EN: 0
; COMPUTE_PGM_RSRC2:TGID_Z_EN: 0
; COMPUTE_PGM_RSRC2:TIDIG_COMP_CNT: 0
	.section	.text._ZN9rocsparseL22gebsrmvn_mxn_16_kernelILj42ELj14ELj3EdEEvi20rocsparse_direction_NS_24const_host_device_scalarIT2_EEPKiS6_PKS3_iiS8_S4_PS3_21rocsparse_index_base_b,"axG",@progbits,_ZN9rocsparseL22gebsrmvn_mxn_16_kernelILj42ELj14ELj3EdEEvi20rocsparse_direction_NS_24const_host_device_scalarIT2_EEPKiS6_PKS3_iiS8_S4_PS3_21rocsparse_index_base_b,comdat
	.globl	_ZN9rocsparseL22gebsrmvn_mxn_16_kernelILj42ELj14ELj3EdEEvi20rocsparse_direction_NS_24const_host_device_scalarIT2_EEPKiS6_PKS3_iiS8_S4_PS3_21rocsparse_index_base_b ; -- Begin function _ZN9rocsparseL22gebsrmvn_mxn_16_kernelILj42ELj14ELj3EdEEvi20rocsparse_direction_NS_24const_host_device_scalarIT2_EEPKiS6_PKS3_iiS8_S4_PS3_21rocsparse_index_base_b
	.p2align	8
	.type	_ZN9rocsparseL22gebsrmvn_mxn_16_kernelILj42ELj14ELj3EdEEvi20rocsparse_direction_NS_24const_host_device_scalarIT2_EEPKiS6_PKS3_iiS8_S4_PS3_21rocsparse_index_base_b,@function
_ZN9rocsparseL22gebsrmvn_mxn_16_kernelILj42ELj14ELj3EdEEvi20rocsparse_direction_NS_24const_host_device_scalarIT2_EEPKiS6_PKS3_iiS8_S4_PS3_21rocsparse_index_base_b: ; @_ZN9rocsparseL22gebsrmvn_mxn_16_kernelILj42ELj14ELj3EdEEvi20rocsparse_direction_NS_24const_host_device_scalarIT2_EEPKiS6_PKS3_iiS8_S4_PS3_21rocsparse_index_base_b
; %bb.0:
	s_clause 0x2
	s_load_b64 s[10:11], s[0:1], 0x48
	s_load_b64 s[4:5], s[0:1], 0x8
	;; [unrolled: 1-line block ×3, first 2 shown]
	s_wait_kmcnt 0x0
	s_bitcmp1_b32 s11, 0
	v_mov_b64_e32 v[4:5], s[4:5]
	s_cselect_b32 s6, -1, 0
	s_delay_alu instid0(SALU_CYCLE_1)
	s_and_b32 vcc_lo, exec_lo, s6
	s_xor_b32 s6, s6, -1
	s_cbranch_vccnz .LBB46_2
; %bb.1:
	v_mov_b32_e32 v1, 0
	flat_load_b64 v[4:5], v1, s[4:5]
.LBB46_2:
	v_mov_b64_e32 v[2:3], s[2:3]
	s_and_not1_b32 vcc_lo, exec_lo, s6
	s_cbranch_vccnz .LBB46_4
; %bb.3:
	s_wait_xcnt 0x0
	v_mov_b32_e32 v1, 0
	flat_load_b64 v[2:3], v1, s[2:3]
.LBB46_4:
	s_wait_loadcnt_dscnt 0x0
	v_cmp_neq_f64_e32 vcc_lo, 0, v[4:5]
	s_delay_alu instid0(VALU_DEP_2) | instskip(SKIP_1) | instid1(SALU_CYCLE_1)
	v_cmp_neq_f64_e64 s2, 1.0, v[2:3]
	s_or_b32 s2, vcc_lo, s2
	s_and_saveexec_b32 s3, s2
	s_cbranch_execz .LBB46_33
; %bb.5:
	v_mul_u32_u24_e32 v1, 0x5556, v0
	s_clause 0x1
	s_load_b32 s4, s[0:1], 0x4
	s_load_b64 s[2:3], s[0:1], 0x10
	v_and_b32_e32 v9, 0xffff, v0
	v_lshrrev_b32_e32 v1, 16, v1
	s_delay_alu instid0(VALU_DEP_1) | instskip(NEXT) | instid1(VALU_DEP_1)
	v_mul_lo_u16 v1, v1, 3
	v_sub_nc_u16 v1, v0, v1
	s_delay_alu instid0(VALU_DEP_1) | instskip(SKIP_3) | instid1(SALU_CYCLE_1)
	v_and_b32_e32 v8, 0xffff, v1
	s_wait_kmcnt 0x0
	s_cmp_lg_u32 s4, 1
	s_cselect_b32 s11, -1, 0
	s_and_b32 vcc_lo, exec_lo, s11
	v_mov_b32_e32 v1, v8
	s_cbranch_vccnz .LBB46_7
; %bb.6:
	v_mul_u32_u24_e32 v1, 0x124a, v9
	s_delay_alu instid0(VALU_DEP_1) | instskip(NEXT) | instid1(VALU_DEP_1)
	v_lshrrev_b32_e32 v1, 16, v1
	v_mul_lo_u16 v6, 0x56, v1
	s_delay_alu instid0(VALU_DEP_1) | instskip(NEXT) | instid1(VALU_DEP_1)
	v_lshrrev_b16 v6, 8, v6
	v_mul_lo_u16 v6, v6, 3
	s_delay_alu instid0(VALU_DEP_1) | instskip(NEXT) | instid1(VALU_DEP_1)
	v_sub_nc_u16 v1, v1, v6
	v_and_b32_e32 v1, 0xff, v1
.LBB46_7:
	s_bfe_u32 s4, ttmp6, 0x4000c
	s_and_b32 s5, ttmp6, 15
	s_add_co_i32 s4, s4, 1
	s_getreg_b32 s6, hwreg(HW_REG_IB_STS2, 6, 4)
	s_mul_i32 s4, ttmp9, s4
	v_mov_b64_e32 v[6:7], 0
	s_add_co_i32 s5, s5, s4
	s_cmp_eq_u32 s6, 0
	s_cselect_b32 s8, ttmp9, s5
	s_delay_alu instid0(SALU_CYCLE_1) | instskip(NEXT) | instid1(SALU_CYCLE_1)
	s_ashr_i32 s9, s8, 31
	s_lshl_b64 s[4:5], s[8:9], 2
	s_delay_alu instid0(SALU_CYCLE_1)
	s_add_nc_u64 s[4:5], s[2:3], s[4:5]
	s_load_b64 s[14:15], s[4:5], 0x0
	s_load_b64 s[2:3], s[0:1], 0x40
	s_wait_kmcnt 0x0
	s_cmp_ge_i32 s14, s15
	s_cbranch_scc1 .LBB46_12
; %bb.8:
	s_clause 0x1
	s_load_b128 s[4:7], s[0:1], 0x18
	s_load_b64 s[12:13], s[0:1], 0x30
	v_mad_u32 v10, s14, 42, v0
	v_mul_u32_u24_e32 v9, 0x619, v9
	s_wait_xcnt 0x0
	s_mul_i32 s0, s10, 42
	v_mov_b64_e32 v[6:7], 0
	s_sub_co_i32 s1, s14, s10
	v_lshrrev_b32_e32 v9, 16, v9
	s_delay_alu instid0(VALU_DEP_4)
	v_subrev_nc_u32_e32 v10, s0, v10
	s_sub_co_i32 s0, s15, s10
	s_branch .LBB46_10
.LBB46_9:                               ;   in Loop: Header=BB46_10 Depth=1
	s_or_b32 exec_lo, exec_lo, s9
	v_add_nc_u32_e32 v10, 42, v10
	s_add_co_i32 s1, s1, 1
	s_delay_alu instid0(SALU_CYCLE_1)
	s_cmp_ge_i32 s1, s0
	s_cbranch_scc1 .LBB46_12
.LBB46_10:                              ; =>This Inner Loop Header: Depth=1
	s_delay_alu instid0(VALU_DEP_2) | instskip(SKIP_1) | instid1(VALU_DEP_1)
	v_add_nc_u32_e32 v11, s1, v9
	s_mov_b32 s9, exec_lo
	v_cmpx_gt_i32_e64 s0, v11
	s_cbranch_execz .LBB46_9
; %bb.11:                               ;   in Loop: Header=BB46_10 Depth=1
	s_wait_kmcnt 0x0
	global_load_b32 v11, v11, s[4:5] scale_offset
	s_wait_loadcnt 0x0
	v_subrev_nc_u32_e32 v11, s10, v11
	s_delay_alu instid0(VALU_DEP_1)
	v_mad_u32 v11, v11, 3, v1
	global_load_b64 v[12:13], v10, s[6:7] scale_offset
	global_load_b64 v[14:15], v11, s[12:13] scale_offset
	s_wait_loadcnt 0x0
	v_fmac_f64_e32 v[6:7], v[12:13], v[14:15]
	s_branch .LBB46_9
.LBB46_12:
	v_lshlrev_b32_e32 v1, 3, v0
	s_and_b32 vcc_lo, exec_lo, s11
	ds_store_b64 v1, v[6:7]
	s_wait_dscnt 0x0
	s_barrier_signal -1
	s_barrier_wait -1
	s_cbranch_vccz .LBB46_20
; %bb.13:
	v_cmp_eq_u16_e32 vcc_lo, 0, v8
	s_and_saveexec_b32 s0, vcc_lo
	s_cbranch_execz .LBB46_15
; %bb.14:
	ds_load_2addr_b64 v[8:11], v1 offset1:2
	s_wait_dscnt 0x0
	v_add_f64_e32 v[8:9], v[10:11], v[8:9]
	ds_store_b64 v1, v[8:9]
.LBB46_15:
	s_or_b32 exec_lo, exec_lo, s0
	s_wait_dscnt 0x0
	s_barrier_signal -1
	s_barrier_wait -1
	s_and_saveexec_b32 s0, vcc_lo
	s_cbranch_execz .LBB46_17
; %bb.16:
	ds_load_2addr_b64 v[8:11], v1 offset1:1
	s_wait_dscnt 0x0
	v_add_f64_e32 v[8:9], v[10:11], v[8:9]
	ds_store_b64 v1, v[8:9]
.LBB46_17:
	s_or_b32 exec_lo, exec_lo, s0
	v_mov_b64_e32 v[8:9], v[6:7]
	s_mov_b32 s0, exec_lo
	s_wait_dscnt 0x0
	s_barrier_signal -1
	s_barrier_wait -1
	v_cmpx_gt_u32_e32 14, v0
; %bb.18:
	v_lshl_add_u32 v8, v0, 4, v1
	ds_load_b64 v[8:9], v8
; %bb.19:
	s_or_b32 exec_lo, exec_lo, s0
	v_cmp_gt_u32_e64 s0, 14, v0
	s_branch .LBB46_28
.LBB46_20:
                                        ; implicit-def: $vgpr8_vgpr9
	v_cmp_gt_u32_e64 s0, 14, v0
	s_cbranch_execz .LBB46_28
; %bb.21:
	v_cmp_lt_u32_e32 vcc_lo, 13, v0
	s_and_saveexec_b32 s1, s0
	s_cbranch_execz .LBB46_23
; %bb.22:
	s_wait_dscnt 0x0
	ds_load_2addr_b64 v[8:11], v1 offset1:28
	s_wait_dscnt 0x0
	v_add_f64_e32 v[8:9], v[10:11], v[8:9]
	ds_store_b64 v1, v[8:9]
.LBB46_23:
	s_or_b32 exec_lo, exec_lo, s1
	s_wait_dscnt 0x0
	s_barrier_signal -1
	s_barrier_wait -1
	s_and_saveexec_b32 s0, vcc_lo
	s_delay_alu instid0(SALU_CYCLE_1)
	s_xor_b32 s0, exec_lo, s0
; %bb.24:
                                        ; implicit-def: $vgpr1
; %bb.25:
	s_delay_alu instid0(SALU_CYCLE_1)
	s_and_not1_saveexec_b32 s0, s0
	s_cbranch_execz .LBB46_27
; %bb.26:
	ds_load_2addr_b64 v[6:9], v1 offset1:14
	s_wait_dscnt 0x0
	v_add_f64_e32 v[6:7], v[8:9], v[6:7]
	ds_store_b64 v1, v[6:7]
	s_wait_dscnt 0x0
	ds_load_b64 v[6:7], v1
.LBB46_27:
	s_or_b32 exec_lo, exec_lo, s0
	s_wait_dscnt 0x0
	v_mov_b64_e32 v[8:9], v[6:7]
.LBB46_28:
	v_cmp_gt_u32_e32 vcc_lo, 14, v0
	s_and_b32 exec_lo, exec_lo, vcc_lo
	s_cbranch_execz .LBB46_33
; %bb.29:
	s_wait_dscnt 0x0
	s_delay_alu instid0(VALU_DEP_2)
	v_mul_f64_e32 v[4:5], v[4:5], v[8:9]
	v_mad_u32 v0, s8, 14, v0
	s_mov_b32 s0, exec_lo
	v_cmpx_eq_f64_e32 0, v[2:3]
	s_xor_b32 s0, exec_lo, s0
	s_cbranch_execz .LBB46_31
; %bb.30:
	global_store_b64 v0, v[4:5], s[2:3] scale_offset
                                        ; implicit-def: $vgpr0
                                        ; implicit-def: $vgpr2_vgpr3
                                        ; implicit-def: $vgpr4_vgpr5
.LBB46_31:
	s_wait_xcnt 0x0
	s_and_not1_saveexec_b32 s0, s0
	s_cbranch_execz .LBB46_33
; %bb.32:
	global_load_b64 v[6:7], v0, s[2:3] scale_offset
	s_wait_loadcnt 0x0
	v_fmac_f64_e32 v[4:5], v[2:3], v[6:7]
	global_store_b64 v0, v[4:5], s[2:3] scale_offset
.LBB46_33:
	s_endpgm
	.section	.rodata,"a",@progbits
	.p2align	6, 0x0
	.amdhsa_kernel _ZN9rocsparseL22gebsrmvn_mxn_16_kernelILj42ELj14ELj3EdEEvi20rocsparse_direction_NS_24const_host_device_scalarIT2_EEPKiS6_PKS3_iiS8_S4_PS3_21rocsparse_index_base_b
		.amdhsa_group_segment_fixed_size 336
		.amdhsa_private_segment_fixed_size 0
		.amdhsa_kernarg_size 80
		.amdhsa_user_sgpr_count 2
		.amdhsa_user_sgpr_dispatch_ptr 0
		.amdhsa_user_sgpr_queue_ptr 0
		.amdhsa_user_sgpr_kernarg_segment_ptr 1
		.amdhsa_user_sgpr_dispatch_id 0
		.amdhsa_user_sgpr_kernarg_preload_length 0
		.amdhsa_user_sgpr_kernarg_preload_offset 0
		.amdhsa_user_sgpr_private_segment_size 0
		.amdhsa_wavefront_size32 1
		.amdhsa_uses_dynamic_stack 0
		.amdhsa_enable_private_segment 0
		.amdhsa_system_sgpr_workgroup_id_x 1
		.amdhsa_system_sgpr_workgroup_id_y 0
		.amdhsa_system_sgpr_workgroup_id_z 0
		.amdhsa_system_sgpr_workgroup_info 0
		.amdhsa_system_vgpr_workitem_id 0
		.amdhsa_next_free_vgpr 16
		.amdhsa_next_free_sgpr 16
		.amdhsa_named_barrier_count 0
		.amdhsa_reserve_vcc 1
		.amdhsa_float_round_mode_32 0
		.amdhsa_float_round_mode_16_64 0
		.amdhsa_float_denorm_mode_32 3
		.amdhsa_float_denorm_mode_16_64 3
		.amdhsa_fp16_overflow 0
		.amdhsa_memory_ordered 1
		.amdhsa_forward_progress 1
		.amdhsa_inst_pref_size 8
		.amdhsa_round_robin_scheduling 0
		.amdhsa_exception_fp_ieee_invalid_op 0
		.amdhsa_exception_fp_denorm_src 0
		.amdhsa_exception_fp_ieee_div_zero 0
		.amdhsa_exception_fp_ieee_overflow 0
		.amdhsa_exception_fp_ieee_underflow 0
		.amdhsa_exception_fp_ieee_inexact 0
		.amdhsa_exception_int_div_zero 0
	.end_amdhsa_kernel
	.section	.text._ZN9rocsparseL22gebsrmvn_mxn_16_kernelILj42ELj14ELj3EdEEvi20rocsparse_direction_NS_24const_host_device_scalarIT2_EEPKiS6_PKS3_iiS8_S4_PS3_21rocsparse_index_base_b,"axG",@progbits,_ZN9rocsparseL22gebsrmvn_mxn_16_kernelILj42ELj14ELj3EdEEvi20rocsparse_direction_NS_24const_host_device_scalarIT2_EEPKiS6_PKS3_iiS8_S4_PS3_21rocsparse_index_base_b,comdat
.Lfunc_end46:
	.size	_ZN9rocsparseL22gebsrmvn_mxn_16_kernelILj42ELj14ELj3EdEEvi20rocsparse_direction_NS_24const_host_device_scalarIT2_EEPKiS6_PKS3_iiS8_S4_PS3_21rocsparse_index_base_b, .Lfunc_end46-_ZN9rocsparseL22gebsrmvn_mxn_16_kernelILj42ELj14ELj3EdEEvi20rocsparse_direction_NS_24const_host_device_scalarIT2_EEPKiS6_PKS3_iiS8_S4_PS3_21rocsparse_index_base_b
                                        ; -- End function
	.set _ZN9rocsparseL22gebsrmvn_mxn_16_kernelILj42ELj14ELj3EdEEvi20rocsparse_direction_NS_24const_host_device_scalarIT2_EEPKiS6_PKS3_iiS8_S4_PS3_21rocsparse_index_base_b.num_vgpr, 16
	.set _ZN9rocsparseL22gebsrmvn_mxn_16_kernelILj42ELj14ELj3EdEEvi20rocsparse_direction_NS_24const_host_device_scalarIT2_EEPKiS6_PKS3_iiS8_S4_PS3_21rocsparse_index_base_b.num_agpr, 0
	.set _ZN9rocsparseL22gebsrmvn_mxn_16_kernelILj42ELj14ELj3EdEEvi20rocsparse_direction_NS_24const_host_device_scalarIT2_EEPKiS6_PKS3_iiS8_S4_PS3_21rocsparse_index_base_b.numbered_sgpr, 16
	.set _ZN9rocsparseL22gebsrmvn_mxn_16_kernelILj42ELj14ELj3EdEEvi20rocsparse_direction_NS_24const_host_device_scalarIT2_EEPKiS6_PKS3_iiS8_S4_PS3_21rocsparse_index_base_b.num_named_barrier, 0
	.set _ZN9rocsparseL22gebsrmvn_mxn_16_kernelILj42ELj14ELj3EdEEvi20rocsparse_direction_NS_24const_host_device_scalarIT2_EEPKiS6_PKS3_iiS8_S4_PS3_21rocsparse_index_base_b.private_seg_size, 0
	.set _ZN9rocsparseL22gebsrmvn_mxn_16_kernelILj42ELj14ELj3EdEEvi20rocsparse_direction_NS_24const_host_device_scalarIT2_EEPKiS6_PKS3_iiS8_S4_PS3_21rocsparse_index_base_b.uses_vcc, 1
	.set _ZN9rocsparseL22gebsrmvn_mxn_16_kernelILj42ELj14ELj3EdEEvi20rocsparse_direction_NS_24const_host_device_scalarIT2_EEPKiS6_PKS3_iiS8_S4_PS3_21rocsparse_index_base_b.uses_flat_scratch, 0
	.set _ZN9rocsparseL22gebsrmvn_mxn_16_kernelILj42ELj14ELj3EdEEvi20rocsparse_direction_NS_24const_host_device_scalarIT2_EEPKiS6_PKS3_iiS8_S4_PS3_21rocsparse_index_base_b.has_dyn_sized_stack, 0
	.set _ZN9rocsparseL22gebsrmvn_mxn_16_kernelILj42ELj14ELj3EdEEvi20rocsparse_direction_NS_24const_host_device_scalarIT2_EEPKiS6_PKS3_iiS8_S4_PS3_21rocsparse_index_base_b.has_recursion, 0
	.set _ZN9rocsparseL22gebsrmvn_mxn_16_kernelILj42ELj14ELj3EdEEvi20rocsparse_direction_NS_24const_host_device_scalarIT2_EEPKiS6_PKS3_iiS8_S4_PS3_21rocsparse_index_base_b.has_indirect_call, 0
	.section	.AMDGPU.csdata,"",@progbits
; Kernel info:
; codeLenInByte = 1008
; TotalNumSgprs: 18
; NumVgprs: 16
; ScratchSize: 0
; MemoryBound: 0
; FloatMode: 240
; IeeeMode: 1
; LDSByteSize: 336 bytes/workgroup (compile time only)
; SGPRBlocks: 0
; VGPRBlocks: 0
; NumSGPRsForWavesPerEU: 18
; NumVGPRsForWavesPerEU: 16
; NamedBarCnt: 0
; Occupancy: 16
; WaveLimiterHint : 1
; COMPUTE_PGM_RSRC2:SCRATCH_EN: 0
; COMPUTE_PGM_RSRC2:USER_SGPR: 2
; COMPUTE_PGM_RSRC2:TRAP_HANDLER: 0
; COMPUTE_PGM_RSRC2:TGID_X_EN: 1
; COMPUTE_PGM_RSRC2:TGID_Y_EN: 0
; COMPUTE_PGM_RSRC2:TGID_Z_EN: 0
; COMPUTE_PGM_RSRC2:TIDIG_COMP_CNT: 0
	.section	.text._ZN9rocsparseL22gebsrmvn_mxn_16_kernelILj56ELj14ELj4EdEEvi20rocsparse_direction_NS_24const_host_device_scalarIT2_EEPKiS6_PKS3_iiS8_S4_PS3_21rocsparse_index_base_b,"axG",@progbits,_ZN9rocsparseL22gebsrmvn_mxn_16_kernelILj56ELj14ELj4EdEEvi20rocsparse_direction_NS_24const_host_device_scalarIT2_EEPKiS6_PKS3_iiS8_S4_PS3_21rocsparse_index_base_b,comdat
	.globl	_ZN9rocsparseL22gebsrmvn_mxn_16_kernelILj56ELj14ELj4EdEEvi20rocsparse_direction_NS_24const_host_device_scalarIT2_EEPKiS6_PKS3_iiS8_S4_PS3_21rocsparse_index_base_b ; -- Begin function _ZN9rocsparseL22gebsrmvn_mxn_16_kernelILj56ELj14ELj4EdEEvi20rocsparse_direction_NS_24const_host_device_scalarIT2_EEPKiS6_PKS3_iiS8_S4_PS3_21rocsparse_index_base_b
	.p2align	8
	.type	_ZN9rocsparseL22gebsrmvn_mxn_16_kernelILj56ELj14ELj4EdEEvi20rocsparse_direction_NS_24const_host_device_scalarIT2_EEPKiS6_PKS3_iiS8_S4_PS3_21rocsparse_index_base_b,@function
_ZN9rocsparseL22gebsrmvn_mxn_16_kernelILj56ELj14ELj4EdEEvi20rocsparse_direction_NS_24const_host_device_scalarIT2_EEPKiS6_PKS3_iiS8_S4_PS3_21rocsparse_index_base_b: ; @_ZN9rocsparseL22gebsrmvn_mxn_16_kernelILj56ELj14ELj4EdEEvi20rocsparse_direction_NS_24const_host_device_scalarIT2_EEPKiS6_PKS3_iiS8_S4_PS3_21rocsparse_index_base_b
; %bb.0:
	s_clause 0x2
	s_load_b64 s[10:11], s[0:1], 0x48
	s_load_b64 s[4:5], s[0:1], 0x8
	;; [unrolled: 1-line block ×3, first 2 shown]
	s_wait_kmcnt 0x0
	s_bitcmp1_b32 s11, 0
	v_mov_b64_e32 v[4:5], s[4:5]
	s_cselect_b32 s6, -1, 0
	s_delay_alu instid0(SALU_CYCLE_1)
	s_and_b32 vcc_lo, exec_lo, s6
	s_xor_b32 s6, s6, -1
	s_cbranch_vccnz .LBB47_2
; %bb.1:
	v_mov_b32_e32 v1, 0
	flat_load_b64 v[4:5], v1, s[4:5]
.LBB47_2:
	v_mov_b64_e32 v[2:3], s[2:3]
	s_and_not1_b32 vcc_lo, exec_lo, s6
	s_cbranch_vccnz .LBB47_4
; %bb.3:
	s_wait_xcnt 0x0
	v_mov_b32_e32 v1, 0
	flat_load_b64 v[2:3], v1, s[2:3]
.LBB47_4:
	s_wait_loadcnt_dscnt 0x0
	v_cmp_neq_f64_e32 vcc_lo, 0, v[4:5]
	s_delay_alu instid0(VALU_DEP_2) | instskip(SKIP_1) | instid1(SALU_CYCLE_1)
	v_cmp_neq_f64_e64 s2, 1.0, v[2:3]
	s_or_b32 s2, vcc_lo, s2
	s_and_saveexec_b32 s3, s2
	s_cbranch_execz .LBB47_33
; %bb.5:
	s_clause 0x1
	s_load_b32 s4, s[0:1], 0x4
	s_load_b64 s[2:3], s[0:1], 0x10
	v_and_b32_e32 v1, 3, v0
	s_delay_alu instid0(VALU_DEP_1) | instskip(SKIP_3) | instid1(SALU_CYCLE_1)
	v_mov_b32_e32 v8, v1
	s_wait_kmcnt 0x0
	s_cmp_lg_u32 s4, 1
	s_cselect_b32 s11, -1, 0
	s_and_b32 vcc_lo, exec_lo, s11
	s_cbranch_vccnz .LBB47_7
; %bb.6:
	v_mul_u32_u24_e32 v6, 0x124a, v0
	s_delay_alu instid0(VALU_DEP_1)
	v_bfe_u32 v8, v6, 16, 2
.LBB47_7:
	s_bfe_u32 s4, ttmp6, 0x4000c
	s_and_b32 s5, ttmp6, 15
	s_add_co_i32 s4, s4, 1
	s_getreg_b32 s6, hwreg(HW_REG_IB_STS2, 6, 4)
	s_mul_i32 s4, ttmp9, s4
	v_mov_b64_e32 v[6:7], 0
	s_add_co_i32 s5, s5, s4
	s_cmp_eq_u32 s6, 0
	s_cselect_b32 s8, ttmp9, s5
	s_delay_alu instid0(SALU_CYCLE_1) | instskip(NEXT) | instid1(SALU_CYCLE_1)
	s_ashr_i32 s9, s8, 31
	s_lshl_b64 s[4:5], s[8:9], 2
	s_delay_alu instid0(SALU_CYCLE_1)
	s_add_nc_u64 s[4:5], s[2:3], s[4:5]
	s_load_b64 s[14:15], s[4:5], 0x0
	s_load_b64 s[2:3], s[0:1], 0x40
	s_wait_kmcnt 0x0
	s_cmp_ge_i32 s14, s15
	s_cbranch_scc1 .LBB47_12
; %bb.8:
	s_clause 0x1
	s_load_b128 s[4:7], s[0:1], 0x18
	s_load_b64 s[12:13], s[0:1], 0x30
	v_mad_u32 v10, s14, 56, v0
	v_mul_u32_u24_e32 v9, 0x493, v0
	s_wait_xcnt 0x0
	s_mul_i32 s0, s10, 56
	v_mov_b64_e32 v[6:7], 0
	s_sub_co_i32 s1, s14, s10
	v_lshrrev_b32_e32 v9, 16, v9
	s_delay_alu instid0(VALU_DEP_4)
	v_subrev_nc_u32_e32 v10, s0, v10
	s_sub_co_i32 s0, s15, s10
	s_branch .LBB47_10
.LBB47_9:                               ;   in Loop: Header=BB47_10 Depth=1
	s_or_b32 exec_lo, exec_lo, s9
	v_add_nc_u32_e32 v10, 56, v10
	s_add_co_i32 s1, s1, 1
	s_delay_alu instid0(SALU_CYCLE_1)
	s_cmp_ge_i32 s1, s0
	s_cbranch_scc1 .LBB47_12
.LBB47_10:                              ; =>This Inner Loop Header: Depth=1
	s_delay_alu instid0(VALU_DEP_2) | instskip(SKIP_1) | instid1(VALU_DEP_1)
	v_add_nc_u32_e32 v11, s1, v9
	s_mov_b32 s9, exec_lo
	v_cmpx_gt_i32_e64 s0, v11
	s_cbranch_execz .LBB47_9
; %bb.11:                               ;   in Loop: Header=BB47_10 Depth=1
	s_wait_kmcnt 0x0
	global_load_b32 v11, v11, s[4:5] scale_offset
	s_wait_loadcnt 0x0
	v_subrev_nc_u32_e32 v11, s10, v11
	s_delay_alu instid0(VALU_DEP_1)
	v_lshl_or_b32 v11, v11, 2, v8
	global_load_b64 v[12:13], v10, s[6:7] scale_offset
	global_load_b64 v[14:15], v11, s[12:13] scale_offset
	s_wait_loadcnt 0x0
	v_fmac_f64_e32 v[6:7], v[12:13], v[14:15]
	s_branch .LBB47_9
.LBB47_12:
	v_lshlrev_b32_e32 v10, 3, v0
	s_and_b32 vcc_lo, exec_lo, s11
	ds_store_b64 v10, v[6:7]
	s_wait_dscnt 0x0
	s_barrier_signal -1
	s_barrier_wait -1
	s_cbranch_vccz .LBB47_20
; %bb.13:
	s_mov_b32 s0, exec_lo
	v_cmpx_gt_u32_e32 2, v1
	s_cbranch_execz .LBB47_15
; %bb.14:
	ds_load_2addr_b64 v[12:15], v10 offset1:2
	s_wait_dscnt 0x0
	v_add_f64_e32 v[8:9], v[14:15], v[12:13]
	ds_store_b64 v10, v[8:9]
.LBB47_15:
	s_or_b32 exec_lo, exec_lo, s0
	s_delay_alu instid0(SALU_CYCLE_1)
	s_mov_b32 s0, exec_lo
	s_wait_dscnt 0x0
	s_barrier_signal -1
	s_barrier_wait -1
	v_cmpx_eq_u32_e32 0, v1
	s_cbranch_execz .LBB47_17
; %bb.16:
	ds_load_2addr_b64 v[12:15], v10 offset1:1
	s_wait_dscnt 0x0
	v_add_f64_e32 v[8:9], v[14:15], v[12:13]
	ds_store_b64 v10, v[8:9]
.LBB47_17:
	s_or_b32 exec_lo, exec_lo, s0
	v_mov_b64_e32 v[8:9], v[6:7]
	s_mov_b32 s0, exec_lo
	s_wait_dscnt 0x0
	s_barrier_signal -1
	s_barrier_wait -1
	v_cmpx_gt_u32_e32 14, v0
; %bb.18:
	v_mad_u32_u24 v1, v0, 24, v10
	ds_load_b64 v[8:9], v1
; %bb.19:
	s_or_b32 exec_lo, exec_lo, s0
	s_branch .LBB47_28
.LBB47_20:
                                        ; implicit-def: $vgpr8_vgpr9
	s_cbranch_execz .LBB47_28
; %bb.21:
	s_mov_b32 s0, exec_lo
	v_cmpx_gt_u32_e32 28, v0
	s_cbranch_execz .LBB47_23
; %bb.22:
	ds_load_2addr_b64 v[12:15], v10 offset1:28
	s_wait_dscnt 0x0
	v_add_f64_e32 v[8:9], v[14:15], v[12:13]
	ds_store_b64 v10, v[8:9]
.LBB47_23:
	s_or_b32 exec_lo, exec_lo, s0
	s_delay_alu instid0(SALU_CYCLE_1)
	s_mov_b32 s0, exec_lo
	s_wait_dscnt 0x0
	v_cmpx_lt_u32_e32 13, v0
	s_xor_b32 s0, exec_lo, s0
; %bb.24:
                                        ; implicit-def: $vgpr10
; %bb.25:
	s_delay_alu instid0(SALU_CYCLE_1)
	s_and_not1_saveexec_b32 s0, s0
	s_cbranch_execz .LBB47_27
; %bb.26:
	ds_load_2addr_b64 v[6:9], v10 offset1:14
	s_wait_dscnt 0x0
	v_add_f64_e32 v[6:7], v[8:9], v[6:7]
	ds_store_b64 v10, v[6:7]
	s_wait_dscnt 0x0
	ds_load_b64 v[6:7], v10
.LBB47_27:
	s_or_b32 exec_lo, exec_lo, s0
	s_wait_dscnt 0x0
	v_mov_b64_e32 v[8:9], v[6:7]
.LBB47_28:
	v_cmp_gt_u32_e32 vcc_lo, 14, v0
	s_and_b32 exec_lo, exec_lo, vcc_lo
	s_cbranch_execz .LBB47_33
; %bb.29:
	s_wait_dscnt 0x0
	s_delay_alu instid0(VALU_DEP_2)
	v_mul_f64_e32 v[4:5], v[4:5], v[8:9]
	v_mad_u32 v0, s8, 14, v0
	s_mov_b32 s0, exec_lo
	v_cmpx_eq_f64_e32 0, v[2:3]
	s_xor_b32 s0, exec_lo, s0
	s_cbranch_execz .LBB47_31
; %bb.30:
	global_store_b64 v0, v[4:5], s[2:3] scale_offset
                                        ; implicit-def: $vgpr0
                                        ; implicit-def: $vgpr2_vgpr3
                                        ; implicit-def: $vgpr4_vgpr5
.LBB47_31:
	s_wait_xcnt 0x0
	s_and_not1_saveexec_b32 s0, s0
	s_cbranch_execz .LBB47_33
; %bb.32:
	global_load_b64 v[6:7], v0, s[2:3] scale_offset
	s_wait_loadcnt 0x0
	v_fmac_f64_e32 v[4:5], v[2:3], v[6:7]
	global_store_b64 v0, v[4:5], s[2:3] scale_offset
.LBB47_33:
	s_endpgm
	.section	.rodata,"a",@progbits
	.p2align	6, 0x0
	.amdhsa_kernel _ZN9rocsparseL22gebsrmvn_mxn_16_kernelILj56ELj14ELj4EdEEvi20rocsparse_direction_NS_24const_host_device_scalarIT2_EEPKiS6_PKS3_iiS8_S4_PS3_21rocsparse_index_base_b
		.amdhsa_group_segment_fixed_size 448
		.amdhsa_private_segment_fixed_size 0
		.amdhsa_kernarg_size 80
		.amdhsa_user_sgpr_count 2
		.amdhsa_user_sgpr_dispatch_ptr 0
		.amdhsa_user_sgpr_queue_ptr 0
		.amdhsa_user_sgpr_kernarg_segment_ptr 1
		.amdhsa_user_sgpr_dispatch_id 0
		.amdhsa_user_sgpr_kernarg_preload_length 0
		.amdhsa_user_sgpr_kernarg_preload_offset 0
		.amdhsa_user_sgpr_private_segment_size 0
		.amdhsa_wavefront_size32 1
		.amdhsa_uses_dynamic_stack 0
		.amdhsa_enable_private_segment 0
		.amdhsa_system_sgpr_workgroup_id_x 1
		.amdhsa_system_sgpr_workgroup_id_y 0
		.amdhsa_system_sgpr_workgroup_id_z 0
		.amdhsa_system_sgpr_workgroup_info 0
		.amdhsa_system_vgpr_workitem_id 0
		.amdhsa_next_free_vgpr 16
		.amdhsa_next_free_sgpr 16
		.amdhsa_named_barrier_count 0
		.amdhsa_reserve_vcc 1
		.amdhsa_float_round_mode_32 0
		.amdhsa_float_round_mode_16_64 0
		.amdhsa_float_denorm_mode_32 3
		.amdhsa_float_denorm_mode_16_64 3
		.amdhsa_fp16_overflow 0
		.amdhsa_memory_ordered 1
		.amdhsa_forward_progress 1
		.amdhsa_inst_pref_size 8
		.amdhsa_round_robin_scheduling 0
		.amdhsa_exception_fp_ieee_invalid_op 0
		.amdhsa_exception_fp_denorm_src 0
		.amdhsa_exception_fp_ieee_div_zero 0
		.amdhsa_exception_fp_ieee_overflow 0
		.amdhsa_exception_fp_ieee_underflow 0
		.amdhsa_exception_fp_ieee_inexact 0
		.amdhsa_exception_int_div_zero 0
	.end_amdhsa_kernel
	.section	.text._ZN9rocsparseL22gebsrmvn_mxn_16_kernelILj56ELj14ELj4EdEEvi20rocsparse_direction_NS_24const_host_device_scalarIT2_EEPKiS6_PKS3_iiS8_S4_PS3_21rocsparse_index_base_b,"axG",@progbits,_ZN9rocsparseL22gebsrmvn_mxn_16_kernelILj56ELj14ELj4EdEEvi20rocsparse_direction_NS_24const_host_device_scalarIT2_EEPKiS6_PKS3_iiS8_S4_PS3_21rocsparse_index_base_b,comdat
.Lfunc_end47:
	.size	_ZN9rocsparseL22gebsrmvn_mxn_16_kernelILj56ELj14ELj4EdEEvi20rocsparse_direction_NS_24const_host_device_scalarIT2_EEPKiS6_PKS3_iiS8_S4_PS3_21rocsparse_index_base_b, .Lfunc_end47-_ZN9rocsparseL22gebsrmvn_mxn_16_kernelILj56ELj14ELj4EdEEvi20rocsparse_direction_NS_24const_host_device_scalarIT2_EEPKiS6_PKS3_iiS8_S4_PS3_21rocsparse_index_base_b
                                        ; -- End function
	.set _ZN9rocsparseL22gebsrmvn_mxn_16_kernelILj56ELj14ELj4EdEEvi20rocsparse_direction_NS_24const_host_device_scalarIT2_EEPKiS6_PKS3_iiS8_S4_PS3_21rocsparse_index_base_b.num_vgpr, 16
	.set _ZN9rocsparseL22gebsrmvn_mxn_16_kernelILj56ELj14ELj4EdEEvi20rocsparse_direction_NS_24const_host_device_scalarIT2_EEPKiS6_PKS3_iiS8_S4_PS3_21rocsparse_index_base_b.num_agpr, 0
	.set _ZN9rocsparseL22gebsrmvn_mxn_16_kernelILj56ELj14ELj4EdEEvi20rocsparse_direction_NS_24const_host_device_scalarIT2_EEPKiS6_PKS3_iiS8_S4_PS3_21rocsparse_index_base_b.numbered_sgpr, 16
	.set _ZN9rocsparseL22gebsrmvn_mxn_16_kernelILj56ELj14ELj4EdEEvi20rocsparse_direction_NS_24const_host_device_scalarIT2_EEPKiS6_PKS3_iiS8_S4_PS3_21rocsparse_index_base_b.num_named_barrier, 0
	.set _ZN9rocsparseL22gebsrmvn_mxn_16_kernelILj56ELj14ELj4EdEEvi20rocsparse_direction_NS_24const_host_device_scalarIT2_EEPKiS6_PKS3_iiS8_S4_PS3_21rocsparse_index_base_b.private_seg_size, 0
	.set _ZN9rocsparseL22gebsrmvn_mxn_16_kernelILj56ELj14ELj4EdEEvi20rocsparse_direction_NS_24const_host_device_scalarIT2_EEPKiS6_PKS3_iiS8_S4_PS3_21rocsparse_index_base_b.uses_vcc, 1
	.set _ZN9rocsparseL22gebsrmvn_mxn_16_kernelILj56ELj14ELj4EdEEvi20rocsparse_direction_NS_24const_host_device_scalarIT2_EEPKiS6_PKS3_iiS8_S4_PS3_21rocsparse_index_base_b.uses_flat_scratch, 0
	.set _ZN9rocsparseL22gebsrmvn_mxn_16_kernelILj56ELj14ELj4EdEEvi20rocsparse_direction_NS_24const_host_device_scalarIT2_EEPKiS6_PKS3_iiS8_S4_PS3_21rocsparse_index_base_b.has_dyn_sized_stack, 0
	.set _ZN9rocsparseL22gebsrmvn_mxn_16_kernelILj56ELj14ELj4EdEEvi20rocsparse_direction_NS_24const_host_device_scalarIT2_EEPKiS6_PKS3_iiS8_S4_PS3_21rocsparse_index_base_b.has_recursion, 0
	.set _ZN9rocsparseL22gebsrmvn_mxn_16_kernelILj56ELj14ELj4EdEEvi20rocsparse_direction_NS_24const_host_device_scalarIT2_EEPKiS6_PKS3_iiS8_S4_PS3_21rocsparse_index_base_b.has_indirect_call, 0
	.section	.AMDGPU.csdata,"",@progbits
; Kernel info:
; codeLenInByte = 900
; TotalNumSgprs: 18
; NumVgprs: 16
; ScratchSize: 0
; MemoryBound: 0
; FloatMode: 240
; IeeeMode: 1
; LDSByteSize: 448 bytes/workgroup (compile time only)
; SGPRBlocks: 0
; VGPRBlocks: 0
; NumSGPRsForWavesPerEU: 18
; NumVGPRsForWavesPerEU: 16
; NamedBarCnt: 0
; Occupancy: 16
; WaveLimiterHint : 1
; COMPUTE_PGM_RSRC2:SCRATCH_EN: 0
; COMPUTE_PGM_RSRC2:USER_SGPR: 2
; COMPUTE_PGM_RSRC2:TRAP_HANDLER: 0
; COMPUTE_PGM_RSRC2:TGID_X_EN: 1
; COMPUTE_PGM_RSRC2:TGID_Y_EN: 0
; COMPUTE_PGM_RSRC2:TGID_Z_EN: 0
; COMPUTE_PGM_RSRC2:TIDIG_COMP_CNT: 0
	.section	.text._ZN9rocsparseL22gebsrmvn_mxn_16_kernelILj70ELj14ELj5EdEEvi20rocsparse_direction_NS_24const_host_device_scalarIT2_EEPKiS6_PKS3_iiS8_S4_PS3_21rocsparse_index_base_b,"axG",@progbits,_ZN9rocsparseL22gebsrmvn_mxn_16_kernelILj70ELj14ELj5EdEEvi20rocsparse_direction_NS_24const_host_device_scalarIT2_EEPKiS6_PKS3_iiS8_S4_PS3_21rocsparse_index_base_b,comdat
	.globl	_ZN9rocsparseL22gebsrmvn_mxn_16_kernelILj70ELj14ELj5EdEEvi20rocsparse_direction_NS_24const_host_device_scalarIT2_EEPKiS6_PKS3_iiS8_S4_PS3_21rocsparse_index_base_b ; -- Begin function _ZN9rocsparseL22gebsrmvn_mxn_16_kernelILj70ELj14ELj5EdEEvi20rocsparse_direction_NS_24const_host_device_scalarIT2_EEPKiS6_PKS3_iiS8_S4_PS3_21rocsparse_index_base_b
	.p2align	8
	.type	_ZN9rocsparseL22gebsrmvn_mxn_16_kernelILj70ELj14ELj5EdEEvi20rocsparse_direction_NS_24const_host_device_scalarIT2_EEPKiS6_PKS3_iiS8_S4_PS3_21rocsparse_index_base_b,@function
_ZN9rocsparseL22gebsrmvn_mxn_16_kernelILj70ELj14ELj5EdEEvi20rocsparse_direction_NS_24const_host_device_scalarIT2_EEPKiS6_PKS3_iiS8_S4_PS3_21rocsparse_index_base_b: ; @_ZN9rocsparseL22gebsrmvn_mxn_16_kernelILj70ELj14ELj5EdEEvi20rocsparse_direction_NS_24const_host_device_scalarIT2_EEPKiS6_PKS3_iiS8_S4_PS3_21rocsparse_index_base_b
; %bb.0:
	s_clause 0x2
	s_load_b64 s[10:11], s[0:1], 0x48
	s_load_b64 s[4:5], s[0:1], 0x8
	;; [unrolled: 1-line block ×3, first 2 shown]
	s_wait_kmcnt 0x0
	s_bitcmp1_b32 s11, 0
	v_mov_b64_e32 v[4:5], s[4:5]
	s_cselect_b32 s6, -1, 0
	s_delay_alu instid0(SALU_CYCLE_1)
	s_and_b32 vcc_lo, exec_lo, s6
	s_xor_b32 s6, s6, -1
	s_cbranch_vccnz .LBB48_2
; %bb.1:
	v_mov_b32_e32 v1, 0
	flat_load_b64 v[4:5], v1, s[4:5]
.LBB48_2:
	v_mov_b64_e32 v[2:3], s[2:3]
	s_and_not1_b32 vcc_lo, exec_lo, s6
	s_cbranch_vccnz .LBB48_4
; %bb.3:
	s_wait_xcnt 0x0
	v_mov_b32_e32 v1, 0
	flat_load_b64 v[2:3], v1, s[2:3]
.LBB48_4:
	s_wait_loadcnt_dscnt 0x0
	v_cmp_neq_f64_e32 vcc_lo, 0, v[4:5]
	s_delay_alu instid0(VALU_DEP_2) | instskip(SKIP_1) | instid1(SALU_CYCLE_1)
	v_cmp_neq_f64_e64 s2, 1.0, v[2:3]
	s_or_b32 s2, vcc_lo, s2
	s_and_saveexec_b32 s3, s2
	s_cbranch_execz .LBB48_37
; %bb.5:
	v_mul_u32_u24_e32 v1, 0x3334, v0
	s_clause 0x1
	s_load_b32 s4, s[0:1], 0x4
	s_load_b64 s[2:3], s[0:1], 0x10
	v_and_b32_e32 v9, 0xffff, v0
	v_lshrrev_b32_e32 v1, 16, v1
	s_delay_alu instid0(VALU_DEP_1) | instskip(NEXT) | instid1(VALU_DEP_1)
	v_mul_lo_u16 v1, v1, 5
	v_sub_nc_u16 v1, v0, v1
	s_delay_alu instid0(VALU_DEP_1) | instskip(SKIP_3) | instid1(SALU_CYCLE_1)
	v_and_b32_e32 v8, 0xffff, v1
	s_wait_kmcnt 0x0
	s_cmp_lg_u32 s4, 1
	s_cselect_b32 s11, -1, 0
	s_and_b32 vcc_lo, exec_lo, s11
	v_mov_b32_e32 v1, v8
	s_cbranch_vccnz .LBB48_7
; %bb.6:
	v_mul_u32_u24_e32 v1, 0x124a, v9
	s_delay_alu instid0(VALU_DEP_1) | instskip(NEXT) | instid1(VALU_DEP_1)
	v_lshrrev_b32_e32 v1, 16, v1
	v_mul_lo_u16 v6, v1, 52
	s_delay_alu instid0(VALU_DEP_1) | instskip(NEXT) | instid1(VALU_DEP_1)
	v_lshrrev_b16 v6, 8, v6
	v_mul_lo_u16 v6, v6, 5
	s_delay_alu instid0(VALU_DEP_1) | instskip(NEXT) | instid1(VALU_DEP_1)
	v_sub_nc_u16 v1, v1, v6
	v_and_b32_e32 v1, 0xff, v1
.LBB48_7:
	s_bfe_u32 s4, ttmp6, 0x4000c
	s_and_b32 s5, ttmp6, 15
	s_add_co_i32 s4, s4, 1
	s_getreg_b32 s6, hwreg(HW_REG_IB_STS2, 6, 4)
	s_mul_i32 s4, ttmp9, s4
	v_mov_b64_e32 v[6:7], 0
	s_add_co_i32 s5, s5, s4
	s_cmp_eq_u32 s6, 0
	s_cselect_b32 s8, ttmp9, s5
	s_delay_alu instid0(SALU_CYCLE_1) | instskip(NEXT) | instid1(SALU_CYCLE_1)
	s_ashr_i32 s9, s8, 31
	s_lshl_b64 s[4:5], s[8:9], 2
	s_delay_alu instid0(SALU_CYCLE_1)
	s_add_nc_u64 s[4:5], s[2:3], s[4:5]
	s_load_b64 s[14:15], s[4:5], 0x0
	s_load_b64 s[2:3], s[0:1], 0x40
	s_wait_kmcnt 0x0
	s_cmp_ge_i32 s14, s15
	s_cbranch_scc1 .LBB48_12
; %bb.8:
	s_clause 0x1
	s_load_b128 s[4:7], s[0:1], 0x18
	s_load_b64 s[12:13], s[0:1], 0x30
	v_mad_u32 v10, 0x46, s14, v0
	v_mul_u32_u24_e32 v9, 0x3a9, v9
	s_wait_xcnt 0x0
	s_mul_i32 s0, s10, 0x46
	v_mov_b64_e32 v[6:7], 0
	s_sub_co_i32 s1, s14, s10
	v_lshrrev_b32_e32 v9, 16, v9
	s_delay_alu instid0(VALU_DEP_4)
	v_subrev_nc_u32_e32 v10, s0, v10
	s_sub_co_i32 s0, s15, s10
	s_branch .LBB48_10
.LBB48_9:                               ;   in Loop: Header=BB48_10 Depth=1
	s_or_b32 exec_lo, exec_lo, s9
	v_add_nc_u32_e32 v10, 0x46, v10
	s_add_co_i32 s1, s1, 1
	s_delay_alu instid0(SALU_CYCLE_1)
	s_cmp_ge_i32 s1, s0
	s_cbranch_scc1 .LBB48_12
.LBB48_10:                              ; =>This Inner Loop Header: Depth=1
	s_delay_alu instid0(VALU_DEP_2) | instskip(SKIP_1) | instid1(VALU_DEP_1)
	v_add_nc_u32_e32 v11, s1, v9
	s_mov_b32 s9, exec_lo
	v_cmpx_gt_i32_e64 s0, v11
	s_cbranch_execz .LBB48_9
; %bb.11:                               ;   in Loop: Header=BB48_10 Depth=1
	s_wait_kmcnt 0x0
	global_load_b32 v11, v11, s[4:5] scale_offset
	s_wait_loadcnt 0x0
	v_subrev_nc_u32_e32 v11, s10, v11
	s_delay_alu instid0(VALU_DEP_1)
	v_mad_u32 v11, v11, 5, v1
	global_load_b64 v[12:13], v10, s[6:7] scale_offset
	global_load_b64 v[14:15], v11, s[12:13] scale_offset
	s_wait_loadcnt 0x0
	v_fmac_f64_e32 v[6:7], v[12:13], v[14:15]
	s_branch .LBB48_9
.LBB48_12:
	v_lshlrev_b32_e32 v1, 3, v0
	s_and_b32 vcc_lo, exec_lo, s11
	ds_store_b64 v1, v[6:7]
	s_wait_dscnt 0x0
	s_barrier_signal -1
	s_barrier_wait -1
	s_cbranch_vccz .LBB48_22
; %bb.13:
	v_cmp_eq_u16_e32 vcc_lo, 0, v8
	s_and_saveexec_b32 s0, vcc_lo
	s_cbranch_execz .LBB48_15
; %bb.14:
	ds_load_2addr_b64 v[10:13], v1 offset1:4
	s_wait_dscnt 0x0
	v_add_f64_e32 v[10:11], v[12:13], v[10:11]
	ds_store_b64 v1, v[10:11]
.LBB48_15:
	s_or_b32 exec_lo, exec_lo, s0
	s_delay_alu instid0(SALU_CYCLE_1)
	s_mov_b32 s1, exec_lo
	s_wait_dscnt 0x0
	s_barrier_signal -1
	s_barrier_wait -1
	v_cmpx_gt_u16_e32 2, v8
	s_cbranch_execz .LBB48_17
; %bb.16:
	ds_load_2addr_b64 v[8:11], v1 offset1:2
	s_wait_dscnt 0x0
	v_add_f64_e32 v[8:9], v[10:11], v[8:9]
	ds_store_b64 v1, v[8:9]
.LBB48_17:
	s_or_b32 exec_lo, exec_lo, s1
	s_wait_dscnt 0x0
	s_barrier_signal -1
	s_barrier_wait -1
	s_and_saveexec_b32 s0, vcc_lo
	s_cbranch_execz .LBB48_19
; %bb.18:
	ds_load_2addr_b64 v[8:11], v1 offset1:1
	s_wait_dscnt 0x0
	v_add_f64_e32 v[8:9], v[10:11], v[8:9]
	ds_store_b64 v1, v[8:9]
.LBB48_19:
	s_or_b32 exec_lo, exec_lo, s0
	v_mov_b64_e32 v[8:9], v[6:7]
	s_mov_b32 s0, exec_lo
	s_wait_dscnt 0x0
	s_barrier_signal -1
	s_barrier_wait -1
	v_cmpx_gt_u32_e32 14, v0
; %bb.20:
	v_lshl_add_u32 v8, v0, 5, v1
	ds_load_b64 v[8:9], v8
; %bb.21:
	s_or_b32 exec_lo, exec_lo, s0
	v_cmp_gt_u32_e64 s0, 14, v0
	s_branch .LBB48_32
.LBB48_22:
                                        ; implicit-def: $vgpr8_vgpr9
	v_cmp_gt_u32_e64 s0, 14, v0
	s_cbranch_execz .LBB48_32
; %bb.23:
	v_cmp_lt_u32_e32 vcc_lo, 13, v0
	s_and_saveexec_b32 s1, s0
	s_cbranch_execz .LBB48_25
; %bb.24:
	s_wait_dscnt 0x0
	ds_load_2addr_b64 v[8:11], v1 offset1:56
	s_wait_dscnt 0x0
	v_add_f64_e32 v[8:9], v[10:11], v[8:9]
	ds_store_b64 v1, v[8:9]
.LBB48_25:
	s_or_b32 exec_lo, exec_lo, s1
	s_delay_alu instid0(SALU_CYCLE_1)
	s_mov_b32 s1, exec_lo
	s_wait_dscnt 0x0
	s_barrier_signal -1
	s_barrier_wait -1
	v_cmpx_gt_u32_e32 28, v0
	s_cbranch_execz .LBB48_27
; %bb.26:
	ds_load_2addr_b64 v[8:11], v1 offset1:28
	s_wait_dscnt 0x0
	v_add_f64_e32 v[8:9], v[10:11], v[8:9]
	ds_store_b64 v1, v[8:9]
.LBB48_27:
	s_or_b32 exec_lo, exec_lo, s1
	s_wait_dscnt 0x0
	s_and_saveexec_b32 s0, vcc_lo
	s_delay_alu instid0(SALU_CYCLE_1)
	s_xor_b32 s0, exec_lo, s0
; %bb.28:
                                        ; implicit-def: $vgpr1
; %bb.29:
	s_delay_alu instid0(SALU_CYCLE_1)
	s_and_not1_saveexec_b32 s0, s0
	s_cbranch_execz .LBB48_31
; %bb.30:
	ds_load_2addr_b64 v[6:9], v1 offset1:14
	s_wait_dscnt 0x0
	v_add_f64_e32 v[6:7], v[8:9], v[6:7]
	ds_store_b64 v1, v[6:7]
	s_wait_dscnt 0x0
	ds_load_b64 v[6:7], v1
.LBB48_31:
	s_or_b32 exec_lo, exec_lo, s0
	s_wait_dscnt 0x0
	v_mov_b64_e32 v[8:9], v[6:7]
.LBB48_32:
	v_cmp_gt_u32_e32 vcc_lo, 14, v0
	s_and_b32 exec_lo, exec_lo, vcc_lo
	s_cbranch_execz .LBB48_37
; %bb.33:
	s_wait_dscnt 0x0
	s_delay_alu instid0(VALU_DEP_2)
	v_mul_f64_e32 v[4:5], v[4:5], v[8:9]
	v_mad_u32 v0, s8, 14, v0
	s_mov_b32 s0, exec_lo
	v_cmpx_eq_f64_e32 0, v[2:3]
	s_xor_b32 s0, exec_lo, s0
	s_cbranch_execz .LBB48_35
; %bb.34:
	global_store_b64 v0, v[4:5], s[2:3] scale_offset
                                        ; implicit-def: $vgpr0
                                        ; implicit-def: $vgpr2_vgpr3
                                        ; implicit-def: $vgpr4_vgpr5
.LBB48_35:
	s_wait_xcnt 0x0
	s_and_not1_saveexec_b32 s0, s0
	s_cbranch_execz .LBB48_37
; %bb.36:
	global_load_b64 v[6:7], v0, s[2:3] scale_offset
	s_wait_loadcnt 0x0
	v_fmac_f64_e32 v[4:5], v[2:3], v[6:7]
	global_store_b64 v0, v[4:5], s[2:3] scale_offset
.LBB48_37:
	s_endpgm
	.section	.rodata,"a",@progbits
	.p2align	6, 0x0
	.amdhsa_kernel _ZN9rocsparseL22gebsrmvn_mxn_16_kernelILj70ELj14ELj5EdEEvi20rocsparse_direction_NS_24const_host_device_scalarIT2_EEPKiS6_PKS3_iiS8_S4_PS3_21rocsparse_index_base_b
		.amdhsa_group_segment_fixed_size 560
		.amdhsa_private_segment_fixed_size 0
		.amdhsa_kernarg_size 80
		.amdhsa_user_sgpr_count 2
		.amdhsa_user_sgpr_dispatch_ptr 0
		.amdhsa_user_sgpr_queue_ptr 0
		.amdhsa_user_sgpr_kernarg_segment_ptr 1
		.amdhsa_user_sgpr_dispatch_id 0
		.amdhsa_user_sgpr_kernarg_preload_length 0
		.amdhsa_user_sgpr_kernarg_preload_offset 0
		.amdhsa_user_sgpr_private_segment_size 0
		.amdhsa_wavefront_size32 1
		.amdhsa_uses_dynamic_stack 0
		.amdhsa_enable_private_segment 0
		.amdhsa_system_sgpr_workgroup_id_x 1
		.amdhsa_system_sgpr_workgroup_id_y 0
		.amdhsa_system_sgpr_workgroup_id_z 0
		.amdhsa_system_sgpr_workgroup_info 0
		.amdhsa_system_vgpr_workitem_id 0
		.amdhsa_next_free_vgpr 16
		.amdhsa_next_free_sgpr 16
		.amdhsa_named_barrier_count 0
		.amdhsa_reserve_vcc 1
		.amdhsa_float_round_mode_32 0
		.amdhsa_float_round_mode_16_64 0
		.amdhsa_float_denorm_mode_32 3
		.amdhsa_float_denorm_mode_16_64 3
		.amdhsa_fp16_overflow 0
		.amdhsa_memory_ordered 1
		.amdhsa_forward_progress 1
		.amdhsa_inst_pref_size 9
		.amdhsa_round_robin_scheduling 0
		.amdhsa_exception_fp_ieee_invalid_op 0
		.amdhsa_exception_fp_denorm_src 0
		.amdhsa_exception_fp_ieee_div_zero 0
		.amdhsa_exception_fp_ieee_overflow 0
		.amdhsa_exception_fp_ieee_underflow 0
		.amdhsa_exception_fp_ieee_inexact 0
		.amdhsa_exception_int_div_zero 0
	.end_amdhsa_kernel
	.section	.text._ZN9rocsparseL22gebsrmvn_mxn_16_kernelILj70ELj14ELj5EdEEvi20rocsparse_direction_NS_24const_host_device_scalarIT2_EEPKiS6_PKS3_iiS8_S4_PS3_21rocsparse_index_base_b,"axG",@progbits,_ZN9rocsparseL22gebsrmvn_mxn_16_kernelILj70ELj14ELj5EdEEvi20rocsparse_direction_NS_24const_host_device_scalarIT2_EEPKiS6_PKS3_iiS8_S4_PS3_21rocsparse_index_base_b,comdat
.Lfunc_end48:
	.size	_ZN9rocsparseL22gebsrmvn_mxn_16_kernelILj70ELj14ELj5EdEEvi20rocsparse_direction_NS_24const_host_device_scalarIT2_EEPKiS6_PKS3_iiS8_S4_PS3_21rocsparse_index_base_b, .Lfunc_end48-_ZN9rocsparseL22gebsrmvn_mxn_16_kernelILj70ELj14ELj5EdEEvi20rocsparse_direction_NS_24const_host_device_scalarIT2_EEPKiS6_PKS3_iiS8_S4_PS3_21rocsparse_index_base_b
                                        ; -- End function
	.set _ZN9rocsparseL22gebsrmvn_mxn_16_kernelILj70ELj14ELj5EdEEvi20rocsparse_direction_NS_24const_host_device_scalarIT2_EEPKiS6_PKS3_iiS8_S4_PS3_21rocsparse_index_base_b.num_vgpr, 16
	.set _ZN9rocsparseL22gebsrmvn_mxn_16_kernelILj70ELj14ELj5EdEEvi20rocsparse_direction_NS_24const_host_device_scalarIT2_EEPKiS6_PKS3_iiS8_S4_PS3_21rocsparse_index_base_b.num_agpr, 0
	.set _ZN9rocsparseL22gebsrmvn_mxn_16_kernelILj70ELj14ELj5EdEEvi20rocsparse_direction_NS_24const_host_device_scalarIT2_EEPKiS6_PKS3_iiS8_S4_PS3_21rocsparse_index_base_b.numbered_sgpr, 16
	.set _ZN9rocsparseL22gebsrmvn_mxn_16_kernelILj70ELj14ELj5EdEEvi20rocsparse_direction_NS_24const_host_device_scalarIT2_EEPKiS6_PKS3_iiS8_S4_PS3_21rocsparse_index_base_b.num_named_barrier, 0
	.set _ZN9rocsparseL22gebsrmvn_mxn_16_kernelILj70ELj14ELj5EdEEvi20rocsparse_direction_NS_24const_host_device_scalarIT2_EEPKiS6_PKS3_iiS8_S4_PS3_21rocsparse_index_base_b.private_seg_size, 0
	.set _ZN9rocsparseL22gebsrmvn_mxn_16_kernelILj70ELj14ELj5EdEEvi20rocsparse_direction_NS_24const_host_device_scalarIT2_EEPKiS6_PKS3_iiS8_S4_PS3_21rocsparse_index_base_b.uses_vcc, 1
	.set _ZN9rocsparseL22gebsrmvn_mxn_16_kernelILj70ELj14ELj5EdEEvi20rocsparse_direction_NS_24const_host_device_scalarIT2_EEPKiS6_PKS3_iiS8_S4_PS3_21rocsparse_index_base_b.uses_flat_scratch, 0
	.set _ZN9rocsparseL22gebsrmvn_mxn_16_kernelILj70ELj14ELj5EdEEvi20rocsparse_direction_NS_24const_host_device_scalarIT2_EEPKiS6_PKS3_iiS8_S4_PS3_21rocsparse_index_base_b.has_dyn_sized_stack, 0
	.set _ZN9rocsparseL22gebsrmvn_mxn_16_kernelILj70ELj14ELj5EdEEvi20rocsparse_direction_NS_24const_host_device_scalarIT2_EEPKiS6_PKS3_iiS8_S4_PS3_21rocsparse_index_base_b.has_recursion, 0
	.set _ZN9rocsparseL22gebsrmvn_mxn_16_kernelILj70ELj14ELj5EdEEvi20rocsparse_direction_NS_24const_host_device_scalarIT2_EEPKiS6_PKS3_iiS8_S4_PS3_21rocsparse_index_base_b.has_indirect_call, 0
	.section	.AMDGPU.csdata,"",@progbits
; Kernel info:
; codeLenInByte = 1120
; TotalNumSgprs: 18
; NumVgprs: 16
; ScratchSize: 0
; MemoryBound: 0
; FloatMode: 240
; IeeeMode: 1
; LDSByteSize: 560 bytes/workgroup (compile time only)
; SGPRBlocks: 0
; VGPRBlocks: 0
; NumSGPRsForWavesPerEU: 18
; NumVGPRsForWavesPerEU: 16
; NamedBarCnt: 0
; Occupancy: 16
; WaveLimiterHint : 1
; COMPUTE_PGM_RSRC2:SCRATCH_EN: 0
; COMPUTE_PGM_RSRC2:USER_SGPR: 2
; COMPUTE_PGM_RSRC2:TRAP_HANDLER: 0
; COMPUTE_PGM_RSRC2:TGID_X_EN: 1
; COMPUTE_PGM_RSRC2:TGID_Y_EN: 0
; COMPUTE_PGM_RSRC2:TGID_Z_EN: 0
; COMPUTE_PGM_RSRC2:TIDIG_COMP_CNT: 0
	.section	.text._ZN9rocsparseL22gebsrmvn_mxn_16_kernelILj84ELj14ELj6EdEEvi20rocsparse_direction_NS_24const_host_device_scalarIT2_EEPKiS6_PKS3_iiS8_S4_PS3_21rocsparse_index_base_b,"axG",@progbits,_ZN9rocsparseL22gebsrmvn_mxn_16_kernelILj84ELj14ELj6EdEEvi20rocsparse_direction_NS_24const_host_device_scalarIT2_EEPKiS6_PKS3_iiS8_S4_PS3_21rocsparse_index_base_b,comdat
	.globl	_ZN9rocsparseL22gebsrmvn_mxn_16_kernelILj84ELj14ELj6EdEEvi20rocsparse_direction_NS_24const_host_device_scalarIT2_EEPKiS6_PKS3_iiS8_S4_PS3_21rocsparse_index_base_b ; -- Begin function _ZN9rocsparseL22gebsrmvn_mxn_16_kernelILj84ELj14ELj6EdEEvi20rocsparse_direction_NS_24const_host_device_scalarIT2_EEPKiS6_PKS3_iiS8_S4_PS3_21rocsparse_index_base_b
	.p2align	8
	.type	_ZN9rocsparseL22gebsrmvn_mxn_16_kernelILj84ELj14ELj6EdEEvi20rocsparse_direction_NS_24const_host_device_scalarIT2_EEPKiS6_PKS3_iiS8_S4_PS3_21rocsparse_index_base_b,@function
_ZN9rocsparseL22gebsrmvn_mxn_16_kernelILj84ELj14ELj6EdEEvi20rocsparse_direction_NS_24const_host_device_scalarIT2_EEPKiS6_PKS3_iiS8_S4_PS3_21rocsparse_index_base_b: ; @_ZN9rocsparseL22gebsrmvn_mxn_16_kernelILj84ELj14ELj6EdEEvi20rocsparse_direction_NS_24const_host_device_scalarIT2_EEPKiS6_PKS3_iiS8_S4_PS3_21rocsparse_index_base_b
; %bb.0:
	s_clause 0x2
	s_load_b64 s[10:11], s[0:1], 0x48
	s_load_b64 s[4:5], s[0:1], 0x8
	s_load_b64 s[2:3], s[0:1], 0x38
	s_wait_kmcnt 0x0
	s_bitcmp1_b32 s11, 0
	v_mov_b64_e32 v[4:5], s[4:5]
	s_cselect_b32 s6, -1, 0
	s_delay_alu instid0(SALU_CYCLE_1)
	s_and_b32 vcc_lo, exec_lo, s6
	s_xor_b32 s6, s6, -1
	s_cbranch_vccnz .LBB49_2
; %bb.1:
	v_mov_b32_e32 v1, 0
	flat_load_b64 v[4:5], v1, s[4:5]
.LBB49_2:
	v_mov_b64_e32 v[2:3], s[2:3]
	s_and_not1_b32 vcc_lo, exec_lo, s6
	s_cbranch_vccnz .LBB49_4
; %bb.3:
	s_wait_xcnt 0x0
	v_mov_b32_e32 v1, 0
	flat_load_b64 v[2:3], v1, s[2:3]
.LBB49_4:
	s_wait_loadcnt_dscnt 0x0
	v_cmp_neq_f64_e32 vcc_lo, 0, v[4:5]
	s_delay_alu instid0(VALU_DEP_2) | instskip(SKIP_1) | instid1(SALU_CYCLE_1)
	v_cmp_neq_f64_e64 s2, 1.0, v[2:3]
	s_or_b32 s2, vcc_lo, s2
	s_and_saveexec_b32 s3, s2
	s_cbranch_execz .LBB49_37
; %bb.5:
	v_mul_u32_u24_e32 v1, 0x2aab, v0
	s_clause 0x1
	s_load_b32 s4, s[0:1], 0x4
	s_load_b64 s[2:3], s[0:1], 0x10
	v_and_b32_e32 v9, 0xffff, v0
	v_lshrrev_b32_e32 v1, 16, v1
	s_delay_alu instid0(VALU_DEP_1) | instskip(NEXT) | instid1(VALU_DEP_1)
	v_mul_lo_u16 v1, v1, 6
	v_sub_nc_u16 v1, v0, v1
	s_delay_alu instid0(VALU_DEP_1) | instskip(SKIP_3) | instid1(SALU_CYCLE_1)
	v_and_b32_e32 v8, 0xffff, v1
	s_wait_kmcnt 0x0
	s_cmp_lg_u32 s4, 1
	s_cselect_b32 s11, -1, 0
	s_and_b32 vcc_lo, exec_lo, s11
	v_mov_b32_e32 v1, v8
	s_cbranch_vccnz .LBB49_7
; %bb.6:
	v_mul_u32_u24_e32 v1, 0x124a, v9
	s_delay_alu instid0(VALU_DEP_1) | instskip(NEXT) | instid1(VALU_DEP_1)
	v_lshrrev_b32_e32 v1, 16, v1
	v_mul_lo_u16 v6, v1, 43
	s_delay_alu instid0(VALU_DEP_1) | instskip(NEXT) | instid1(VALU_DEP_1)
	v_lshrrev_b16 v6, 8, v6
	v_mul_lo_u16 v6, v6, 6
	s_delay_alu instid0(VALU_DEP_1) | instskip(NEXT) | instid1(VALU_DEP_1)
	v_sub_nc_u16 v1, v1, v6
	v_and_b32_e32 v1, 0xff, v1
.LBB49_7:
	s_bfe_u32 s4, ttmp6, 0x4000c
	s_and_b32 s5, ttmp6, 15
	s_add_co_i32 s4, s4, 1
	s_getreg_b32 s6, hwreg(HW_REG_IB_STS2, 6, 4)
	s_mul_i32 s4, ttmp9, s4
	v_mov_b64_e32 v[6:7], 0
	s_add_co_i32 s5, s5, s4
	s_cmp_eq_u32 s6, 0
	s_cselect_b32 s8, ttmp9, s5
	s_delay_alu instid0(SALU_CYCLE_1) | instskip(NEXT) | instid1(SALU_CYCLE_1)
	s_ashr_i32 s9, s8, 31
	s_lshl_b64 s[4:5], s[8:9], 2
	s_delay_alu instid0(SALU_CYCLE_1)
	s_add_nc_u64 s[4:5], s[2:3], s[4:5]
	s_load_b64 s[14:15], s[4:5], 0x0
	s_load_b64 s[2:3], s[0:1], 0x40
	s_wait_kmcnt 0x0
	s_cmp_ge_i32 s14, s15
	s_cbranch_scc1 .LBB49_12
; %bb.8:
	s_clause 0x1
	s_load_b128 s[4:7], s[0:1], 0x18
	s_load_b64 s[12:13], s[0:1], 0x30
	v_mad_u32 v10, 0x54, s14, v0
	v_mul_u32_u24_e32 v9, 0x30d, v9
	s_wait_xcnt 0x0
	s_mul_i32 s0, s10, 0x54
	v_mov_b64_e32 v[6:7], 0
	s_sub_co_i32 s1, s14, s10
	v_lshrrev_b32_e32 v9, 16, v9
	s_delay_alu instid0(VALU_DEP_4)
	v_subrev_nc_u32_e32 v10, s0, v10
	s_sub_co_i32 s0, s15, s10
	s_branch .LBB49_10
.LBB49_9:                               ;   in Loop: Header=BB49_10 Depth=1
	s_or_b32 exec_lo, exec_lo, s9
	v_add_nc_u32_e32 v10, 0x54, v10
	s_add_co_i32 s1, s1, 1
	s_delay_alu instid0(SALU_CYCLE_1)
	s_cmp_ge_i32 s1, s0
	s_cbranch_scc1 .LBB49_12
.LBB49_10:                              ; =>This Inner Loop Header: Depth=1
	s_delay_alu instid0(VALU_DEP_2) | instskip(SKIP_1) | instid1(VALU_DEP_1)
	v_add_nc_u32_e32 v11, s1, v9
	s_mov_b32 s9, exec_lo
	v_cmpx_gt_i32_e64 s0, v11
	s_cbranch_execz .LBB49_9
; %bb.11:                               ;   in Loop: Header=BB49_10 Depth=1
	s_wait_kmcnt 0x0
	global_load_b32 v11, v11, s[4:5] scale_offset
	s_wait_loadcnt 0x0
	v_subrev_nc_u32_e32 v11, s10, v11
	s_delay_alu instid0(VALU_DEP_1)
	v_mad_u32 v11, v11, 6, v1
	global_load_b64 v[12:13], v10, s[6:7] scale_offset
	global_load_b64 v[14:15], v11, s[12:13] scale_offset
	s_wait_loadcnt 0x0
	v_fmac_f64_e32 v[6:7], v[12:13], v[14:15]
	s_branch .LBB49_9
.LBB49_12:
	v_lshlrev_b32_e32 v1, 3, v0
	s_and_b32 vcc_lo, exec_lo, s11
	ds_store_b64 v1, v[6:7]
	s_wait_dscnt 0x0
	s_barrier_signal -1
	s_barrier_wait -1
	s_cbranch_vccz .LBB49_22
; %bb.13:
	v_cmp_gt_u16_e32 vcc_lo, 2, v8
	s_and_saveexec_b32 s0, vcc_lo
	s_cbranch_execz .LBB49_15
; %bb.14:
	ds_load_2addr_b64 v[10:13], v1 offset1:4
	s_wait_dscnt 0x0
	v_add_f64_e32 v[10:11], v[12:13], v[10:11]
	ds_store_b64 v1, v[10:11]
.LBB49_15:
	s_or_b32 exec_lo, exec_lo, s0
	s_wait_dscnt 0x0
	s_barrier_signal -1
	s_barrier_wait -1
	s_and_saveexec_b32 s0, vcc_lo
	s_cbranch_execz .LBB49_17
; %bb.16:
	ds_load_2addr_b64 v[10:13], v1 offset1:2
	s_wait_dscnt 0x0
	v_add_f64_e32 v[10:11], v[12:13], v[10:11]
	ds_store_b64 v1, v[10:11]
.LBB49_17:
	s_or_b32 exec_lo, exec_lo, s0
	s_delay_alu instid0(SALU_CYCLE_1)
	s_mov_b32 s0, exec_lo
	s_wait_dscnt 0x0
	s_barrier_signal -1
	s_barrier_wait -1
	v_cmpx_eq_u16_e32 0, v8
	s_cbranch_execz .LBB49_19
; %bb.18:
	ds_load_2addr_b64 v[8:11], v1 offset1:1
	s_wait_dscnt 0x0
	v_add_f64_e32 v[8:9], v[10:11], v[8:9]
	ds_store_b64 v1, v[8:9]
.LBB49_19:
	s_or_b32 exec_lo, exec_lo, s0
	v_mov_b64_e32 v[8:9], v[6:7]
	s_mov_b32 s0, exec_lo
	s_wait_dscnt 0x0
	s_barrier_signal -1
	s_barrier_wait -1
	v_cmpx_gt_u32_e32 14, v0
; %bb.20:
	v_mad_u32_u24 v8, v0, 40, v1
	ds_load_b64 v[8:9], v8
; %bb.21:
	s_or_b32 exec_lo, exec_lo, s0
	s_branch .LBB49_32
.LBB49_22:
                                        ; implicit-def: $vgpr8_vgpr9
	s_cbranch_execz .LBB49_32
; %bb.23:
	v_cmp_gt_u32_e32 vcc_lo, 28, v0
	s_and_saveexec_b32 s0, vcc_lo
	s_cbranch_execz .LBB49_25
; %bb.24:
	s_wait_dscnt 0x0
	ds_load_2addr_b64 v[8:11], v1 offset1:56
	s_wait_dscnt 0x0
	v_add_f64_e32 v[8:9], v[10:11], v[8:9]
	ds_store_b64 v1, v[8:9]
.LBB49_25:
	s_or_b32 exec_lo, exec_lo, s0
	s_wait_dscnt 0x0
	s_barrier_signal -1
	s_barrier_wait -1
	s_and_saveexec_b32 s0, vcc_lo
	s_cbranch_execz .LBB49_27
; %bb.26:
	ds_load_2addr_b64 v[8:11], v1 offset1:28
	s_wait_dscnt 0x0
	v_add_f64_e32 v[8:9], v[10:11], v[8:9]
	ds_store_b64 v1, v[8:9]
.LBB49_27:
	s_or_b32 exec_lo, exec_lo, s0
	s_delay_alu instid0(SALU_CYCLE_1)
	s_mov_b32 s0, exec_lo
	s_wait_dscnt 0x0
	v_cmpx_lt_u32_e32 13, v0
	s_xor_b32 s0, exec_lo, s0
; %bb.28:
                                        ; implicit-def: $vgpr1
; %bb.29:
	s_delay_alu instid0(SALU_CYCLE_1)
	s_and_not1_saveexec_b32 s0, s0
	s_cbranch_execz .LBB49_31
; %bb.30:
	ds_load_2addr_b64 v[6:9], v1 offset1:14
	s_wait_dscnt 0x0
	v_add_f64_e32 v[6:7], v[8:9], v[6:7]
	ds_store_b64 v1, v[6:7]
	s_wait_dscnt 0x0
	ds_load_b64 v[6:7], v1
.LBB49_31:
	s_or_b32 exec_lo, exec_lo, s0
	s_wait_dscnt 0x0
	v_mov_b64_e32 v[8:9], v[6:7]
.LBB49_32:
	v_cmp_gt_u32_e32 vcc_lo, 14, v0
	s_and_b32 exec_lo, exec_lo, vcc_lo
	s_cbranch_execz .LBB49_37
; %bb.33:
	s_wait_dscnt 0x0
	s_delay_alu instid0(VALU_DEP_2)
	v_mul_f64_e32 v[4:5], v[4:5], v[8:9]
	v_mad_u32 v0, s8, 14, v0
	s_mov_b32 s0, exec_lo
	v_cmpx_eq_f64_e32 0, v[2:3]
	s_xor_b32 s0, exec_lo, s0
	s_cbranch_execz .LBB49_35
; %bb.34:
	global_store_b64 v0, v[4:5], s[2:3] scale_offset
                                        ; implicit-def: $vgpr0
                                        ; implicit-def: $vgpr2_vgpr3
                                        ; implicit-def: $vgpr4_vgpr5
.LBB49_35:
	s_wait_xcnt 0x0
	s_and_not1_saveexec_b32 s0, s0
	s_cbranch_execz .LBB49_37
; %bb.36:
	global_load_b64 v[6:7], v0, s[2:3] scale_offset
	s_wait_loadcnt 0x0
	v_fmac_f64_e32 v[4:5], v[2:3], v[6:7]
	global_store_b64 v0, v[4:5], s[2:3] scale_offset
.LBB49_37:
	s_endpgm
	.section	.rodata,"a",@progbits
	.p2align	6, 0x0
	.amdhsa_kernel _ZN9rocsparseL22gebsrmvn_mxn_16_kernelILj84ELj14ELj6EdEEvi20rocsparse_direction_NS_24const_host_device_scalarIT2_EEPKiS6_PKS3_iiS8_S4_PS3_21rocsparse_index_base_b
		.amdhsa_group_segment_fixed_size 672
		.amdhsa_private_segment_fixed_size 0
		.amdhsa_kernarg_size 80
		.amdhsa_user_sgpr_count 2
		.amdhsa_user_sgpr_dispatch_ptr 0
		.amdhsa_user_sgpr_queue_ptr 0
		.amdhsa_user_sgpr_kernarg_segment_ptr 1
		.amdhsa_user_sgpr_dispatch_id 0
		.amdhsa_user_sgpr_kernarg_preload_length 0
		.amdhsa_user_sgpr_kernarg_preload_offset 0
		.amdhsa_user_sgpr_private_segment_size 0
		.amdhsa_wavefront_size32 1
		.amdhsa_uses_dynamic_stack 0
		.amdhsa_enable_private_segment 0
		.amdhsa_system_sgpr_workgroup_id_x 1
		.amdhsa_system_sgpr_workgroup_id_y 0
		.amdhsa_system_sgpr_workgroup_id_z 0
		.amdhsa_system_sgpr_workgroup_info 0
		.amdhsa_system_vgpr_workitem_id 0
		.amdhsa_next_free_vgpr 16
		.amdhsa_next_free_sgpr 16
		.amdhsa_named_barrier_count 0
		.amdhsa_reserve_vcc 1
		.amdhsa_float_round_mode_32 0
		.amdhsa_float_round_mode_16_64 0
		.amdhsa_float_denorm_mode_32 3
		.amdhsa_float_denorm_mode_16_64 3
		.amdhsa_fp16_overflow 0
		.amdhsa_memory_ordered 1
		.amdhsa_forward_progress 1
		.amdhsa_inst_pref_size 9
		.amdhsa_round_robin_scheduling 0
		.amdhsa_exception_fp_ieee_invalid_op 0
		.amdhsa_exception_fp_denorm_src 0
		.amdhsa_exception_fp_ieee_div_zero 0
		.amdhsa_exception_fp_ieee_overflow 0
		.amdhsa_exception_fp_ieee_underflow 0
		.amdhsa_exception_fp_ieee_inexact 0
		.amdhsa_exception_int_div_zero 0
	.end_amdhsa_kernel
	.section	.text._ZN9rocsparseL22gebsrmvn_mxn_16_kernelILj84ELj14ELj6EdEEvi20rocsparse_direction_NS_24const_host_device_scalarIT2_EEPKiS6_PKS3_iiS8_S4_PS3_21rocsparse_index_base_b,"axG",@progbits,_ZN9rocsparseL22gebsrmvn_mxn_16_kernelILj84ELj14ELj6EdEEvi20rocsparse_direction_NS_24const_host_device_scalarIT2_EEPKiS6_PKS3_iiS8_S4_PS3_21rocsparse_index_base_b,comdat
.Lfunc_end49:
	.size	_ZN9rocsparseL22gebsrmvn_mxn_16_kernelILj84ELj14ELj6EdEEvi20rocsparse_direction_NS_24const_host_device_scalarIT2_EEPKiS6_PKS3_iiS8_S4_PS3_21rocsparse_index_base_b, .Lfunc_end49-_ZN9rocsparseL22gebsrmvn_mxn_16_kernelILj84ELj14ELj6EdEEvi20rocsparse_direction_NS_24const_host_device_scalarIT2_EEPKiS6_PKS3_iiS8_S4_PS3_21rocsparse_index_base_b
                                        ; -- End function
	.set _ZN9rocsparseL22gebsrmvn_mxn_16_kernelILj84ELj14ELj6EdEEvi20rocsparse_direction_NS_24const_host_device_scalarIT2_EEPKiS6_PKS3_iiS8_S4_PS3_21rocsparse_index_base_b.num_vgpr, 16
	.set _ZN9rocsparseL22gebsrmvn_mxn_16_kernelILj84ELj14ELj6EdEEvi20rocsparse_direction_NS_24const_host_device_scalarIT2_EEPKiS6_PKS3_iiS8_S4_PS3_21rocsparse_index_base_b.num_agpr, 0
	.set _ZN9rocsparseL22gebsrmvn_mxn_16_kernelILj84ELj14ELj6EdEEvi20rocsparse_direction_NS_24const_host_device_scalarIT2_EEPKiS6_PKS3_iiS8_S4_PS3_21rocsparse_index_base_b.numbered_sgpr, 16
	.set _ZN9rocsparseL22gebsrmvn_mxn_16_kernelILj84ELj14ELj6EdEEvi20rocsparse_direction_NS_24const_host_device_scalarIT2_EEPKiS6_PKS3_iiS8_S4_PS3_21rocsparse_index_base_b.num_named_barrier, 0
	.set _ZN9rocsparseL22gebsrmvn_mxn_16_kernelILj84ELj14ELj6EdEEvi20rocsparse_direction_NS_24const_host_device_scalarIT2_EEPKiS6_PKS3_iiS8_S4_PS3_21rocsparse_index_base_b.private_seg_size, 0
	.set _ZN9rocsparseL22gebsrmvn_mxn_16_kernelILj84ELj14ELj6EdEEvi20rocsparse_direction_NS_24const_host_device_scalarIT2_EEPKiS6_PKS3_iiS8_S4_PS3_21rocsparse_index_base_b.uses_vcc, 1
	.set _ZN9rocsparseL22gebsrmvn_mxn_16_kernelILj84ELj14ELj6EdEEvi20rocsparse_direction_NS_24const_host_device_scalarIT2_EEPKiS6_PKS3_iiS8_S4_PS3_21rocsparse_index_base_b.uses_flat_scratch, 0
	.set _ZN9rocsparseL22gebsrmvn_mxn_16_kernelILj84ELj14ELj6EdEEvi20rocsparse_direction_NS_24const_host_device_scalarIT2_EEPKiS6_PKS3_iiS8_S4_PS3_21rocsparse_index_base_b.has_dyn_sized_stack, 0
	.set _ZN9rocsparseL22gebsrmvn_mxn_16_kernelILj84ELj14ELj6EdEEvi20rocsparse_direction_NS_24const_host_device_scalarIT2_EEPKiS6_PKS3_iiS8_S4_PS3_21rocsparse_index_base_b.has_recursion, 0
	.set _ZN9rocsparseL22gebsrmvn_mxn_16_kernelILj84ELj14ELj6EdEEvi20rocsparse_direction_NS_24const_host_device_scalarIT2_EEPKiS6_PKS3_iiS8_S4_PS3_21rocsparse_index_base_b.has_indirect_call, 0
	.section	.AMDGPU.csdata,"",@progbits
; Kernel info:
; codeLenInByte = 1100
; TotalNumSgprs: 18
; NumVgprs: 16
; ScratchSize: 0
; MemoryBound: 0
; FloatMode: 240
; IeeeMode: 1
; LDSByteSize: 672 bytes/workgroup (compile time only)
; SGPRBlocks: 0
; VGPRBlocks: 0
; NumSGPRsForWavesPerEU: 18
; NumVGPRsForWavesPerEU: 16
; NamedBarCnt: 0
; Occupancy: 16
; WaveLimiterHint : 1
; COMPUTE_PGM_RSRC2:SCRATCH_EN: 0
; COMPUTE_PGM_RSRC2:USER_SGPR: 2
; COMPUTE_PGM_RSRC2:TRAP_HANDLER: 0
; COMPUTE_PGM_RSRC2:TGID_X_EN: 1
; COMPUTE_PGM_RSRC2:TGID_Y_EN: 0
; COMPUTE_PGM_RSRC2:TGID_Z_EN: 0
; COMPUTE_PGM_RSRC2:TIDIG_COMP_CNT: 0
	.section	.text._ZN9rocsparseL22gebsrmvn_mxn_16_kernelILj98ELj14ELj7EdEEvi20rocsparse_direction_NS_24const_host_device_scalarIT2_EEPKiS6_PKS3_iiS8_S4_PS3_21rocsparse_index_base_b,"axG",@progbits,_ZN9rocsparseL22gebsrmvn_mxn_16_kernelILj98ELj14ELj7EdEEvi20rocsparse_direction_NS_24const_host_device_scalarIT2_EEPKiS6_PKS3_iiS8_S4_PS3_21rocsparse_index_base_b,comdat
	.globl	_ZN9rocsparseL22gebsrmvn_mxn_16_kernelILj98ELj14ELj7EdEEvi20rocsparse_direction_NS_24const_host_device_scalarIT2_EEPKiS6_PKS3_iiS8_S4_PS3_21rocsparse_index_base_b ; -- Begin function _ZN9rocsparseL22gebsrmvn_mxn_16_kernelILj98ELj14ELj7EdEEvi20rocsparse_direction_NS_24const_host_device_scalarIT2_EEPKiS6_PKS3_iiS8_S4_PS3_21rocsparse_index_base_b
	.p2align	8
	.type	_ZN9rocsparseL22gebsrmvn_mxn_16_kernelILj98ELj14ELj7EdEEvi20rocsparse_direction_NS_24const_host_device_scalarIT2_EEPKiS6_PKS3_iiS8_S4_PS3_21rocsparse_index_base_b,@function
_ZN9rocsparseL22gebsrmvn_mxn_16_kernelILj98ELj14ELj7EdEEvi20rocsparse_direction_NS_24const_host_device_scalarIT2_EEPKiS6_PKS3_iiS8_S4_PS3_21rocsparse_index_base_b: ; @_ZN9rocsparseL22gebsrmvn_mxn_16_kernelILj98ELj14ELj7EdEEvi20rocsparse_direction_NS_24const_host_device_scalarIT2_EEPKiS6_PKS3_iiS8_S4_PS3_21rocsparse_index_base_b
; %bb.0:
	s_clause 0x2
	s_load_b64 s[10:11], s[0:1], 0x48
	s_load_b64 s[4:5], s[0:1], 0x8
	;; [unrolled: 1-line block ×3, first 2 shown]
	s_wait_kmcnt 0x0
	s_bitcmp1_b32 s11, 0
	v_mov_b64_e32 v[4:5], s[4:5]
	s_cselect_b32 s6, -1, 0
	s_delay_alu instid0(SALU_CYCLE_1)
	s_and_b32 vcc_lo, exec_lo, s6
	s_xor_b32 s6, s6, -1
	s_cbranch_vccnz .LBB50_2
; %bb.1:
	v_mov_b32_e32 v1, 0
	flat_load_b64 v[4:5], v1, s[4:5]
.LBB50_2:
	v_mov_b64_e32 v[2:3], s[2:3]
	s_and_not1_b32 vcc_lo, exec_lo, s6
	s_cbranch_vccnz .LBB50_4
; %bb.3:
	s_wait_xcnt 0x0
	v_mov_b32_e32 v1, 0
	flat_load_b64 v[2:3], v1, s[2:3]
.LBB50_4:
	s_wait_loadcnt_dscnt 0x0
	v_cmp_neq_f64_e32 vcc_lo, 0, v[4:5]
	s_delay_alu instid0(VALU_DEP_2) | instskip(SKIP_1) | instid1(SALU_CYCLE_1)
	v_cmp_neq_f64_e64 s2, 1.0, v[2:3]
	s_or_b32 s2, vcc_lo, s2
	s_and_saveexec_b32 s3, s2
	s_cbranch_execz .LBB50_37
; %bb.5:
	v_mul_u32_u24_e32 v1, 0x2493, v0
	s_clause 0x1
	s_load_b32 s4, s[0:1], 0x4
	s_load_b64 s[2:3], s[0:1], 0x10
	v_and_b32_e32 v9, 0xffff, v0
	v_lshrrev_b32_e32 v1, 16, v1
	s_delay_alu instid0(VALU_DEP_1) | instskip(NEXT) | instid1(VALU_DEP_1)
	v_mul_lo_u16 v1, v1, 7
	v_sub_nc_u16 v1, v0, v1
	s_delay_alu instid0(VALU_DEP_1) | instskip(SKIP_3) | instid1(SALU_CYCLE_1)
	v_and_b32_e32 v8, 0xffff, v1
	s_wait_kmcnt 0x0
	s_cmp_lg_u32 s4, 1
	s_cselect_b32 s11, -1, 0
	s_and_b32 vcc_lo, exec_lo, s11
	v_mov_b32_e32 v1, v8
	s_cbranch_vccnz .LBB50_7
; %bb.6:
	v_mul_u32_u24_e32 v1, 0x124a, v9
	s_delay_alu instid0(VALU_DEP_1) | instskip(NEXT) | instid1(VALU_DEP_1)
	v_lshrrev_b32_e32 v1, 16, v1
	v_mul_lo_u16 v6, v1, 37
	s_delay_alu instid0(VALU_DEP_1) | instskip(NEXT) | instid1(VALU_DEP_1)
	v_lshrrev_b16 v6, 8, v6
	v_mul_lo_u16 v6, v6, 7
	s_delay_alu instid0(VALU_DEP_1) | instskip(NEXT) | instid1(VALU_DEP_1)
	v_sub_nc_u16 v1, v1, v6
	v_and_b32_e32 v1, 0xff, v1
.LBB50_7:
	s_bfe_u32 s4, ttmp6, 0x4000c
	s_and_b32 s5, ttmp6, 15
	s_add_co_i32 s4, s4, 1
	s_getreg_b32 s6, hwreg(HW_REG_IB_STS2, 6, 4)
	s_mul_i32 s4, ttmp9, s4
	v_mov_b64_e32 v[6:7], 0
	s_add_co_i32 s5, s5, s4
	s_cmp_eq_u32 s6, 0
	s_cselect_b32 s8, ttmp9, s5
	s_delay_alu instid0(SALU_CYCLE_1) | instskip(NEXT) | instid1(SALU_CYCLE_1)
	s_ashr_i32 s9, s8, 31
	s_lshl_b64 s[4:5], s[8:9], 2
	s_delay_alu instid0(SALU_CYCLE_1)
	s_add_nc_u64 s[4:5], s[2:3], s[4:5]
	s_load_b64 s[14:15], s[4:5], 0x0
	s_load_b64 s[2:3], s[0:1], 0x40
	s_wait_kmcnt 0x0
	s_cmp_ge_i32 s14, s15
	s_cbranch_scc1 .LBB50_12
; %bb.8:
	s_clause 0x1
	s_load_b128 s[4:7], s[0:1], 0x18
	s_load_b64 s[12:13], s[0:1], 0x30
	v_mad_u32 v10, 0x62, s14, v0
	v_mul_u32_u24_e32 v9, 0x29d, v9
	s_wait_xcnt 0x0
	s_mul_i32 s0, s10, 0x62
	v_mov_b64_e32 v[6:7], 0
	s_sub_co_i32 s1, s14, s10
	v_lshrrev_b32_e32 v9, 16, v9
	s_delay_alu instid0(VALU_DEP_4)
	v_subrev_nc_u32_e32 v10, s0, v10
	s_sub_co_i32 s0, s15, s10
	s_branch .LBB50_10
.LBB50_9:                               ;   in Loop: Header=BB50_10 Depth=1
	s_or_b32 exec_lo, exec_lo, s9
	v_add_nc_u32_e32 v10, 0x62, v10
	s_add_co_i32 s1, s1, 1
	s_delay_alu instid0(SALU_CYCLE_1)
	s_cmp_ge_i32 s1, s0
	s_cbranch_scc1 .LBB50_12
.LBB50_10:                              ; =>This Inner Loop Header: Depth=1
	s_delay_alu instid0(VALU_DEP_2) | instskip(SKIP_1) | instid1(VALU_DEP_1)
	v_add_nc_u32_e32 v11, s1, v9
	s_mov_b32 s9, exec_lo
	v_cmpx_gt_i32_e64 s0, v11
	s_cbranch_execz .LBB50_9
; %bb.11:                               ;   in Loop: Header=BB50_10 Depth=1
	s_wait_kmcnt 0x0
	global_load_b32 v11, v11, s[4:5] scale_offset
	s_wait_loadcnt 0x0
	v_subrev_nc_u32_e32 v11, s10, v11
	s_delay_alu instid0(VALU_DEP_1)
	v_mad_u32 v11, v11, 7, v1
	global_load_b64 v[12:13], v10, s[6:7] scale_offset
	global_load_b64 v[14:15], v11, s[12:13] scale_offset
	s_wait_loadcnt 0x0
	v_fmac_f64_e32 v[6:7], v[12:13], v[14:15]
	s_branch .LBB50_9
.LBB50_12:
	v_lshlrev_b32_e32 v1, 3, v0
	s_and_b32 vcc_lo, exec_lo, s11
	ds_store_b64 v1, v[6:7]
	s_wait_dscnt 0x0
	s_barrier_signal -1
	s_barrier_wait -1
	s_cbranch_vccz .LBB50_22
; %bb.13:
	s_mov_b32 s0, exec_lo
	v_cmpx_gt_u16_e32 3, v8
	s_cbranch_execz .LBB50_15
; %bb.14:
	ds_load_2addr_b64 v[10:13], v1 offset1:4
	s_wait_dscnt 0x0
	v_add_f64_e32 v[10:11], v[12:13], v[10:11]
	ds_store_b64 v1, v[10:11]
.LBB50_15:
	s_or_b32 exec_lo, exec_lo, s0
	s_delay_alu instid0(SALU_CYCLE_1)
	s_mov_b32 s0, exec_lo
	s_wait_dscnt 0x0
	s_barrier_signal -1
	s_barrier_wait -1
	v_cmpx_gt_u16_e32 2, v8
	s_cbranch_execz .LBB50_17
; %bb.16:
	ds_load_2addr_b64 v[10:13], v1 offset1:2
	s_wait_dscnt 0x0
	v_add_f64_e32 v[10:11], v[12:13], v[10:11]
	ds_store_b64 v1, v[10:11]
.LBB50_17:
	s_or_b32 exec_lo, exec_lo, s0
	s_delay_alu instid0(SALU_CYCLE_1)
	s_mov_b32 s0, exec_lo
	s_wait_dscnt 0x0
	s_barrier_signal -1
	s_barrier_wait -1
	v_cmpx_eq_u16_e32 0, v8
	s_cbranch_execz .LBB50_19
; %bb.18:
	ds_load_2addr_b64 v[8:11], v1 offset1:1
	s_wait_dscnt 0x0
	v_add_f64_e32 v[8:9], v[10:11], v[8:9]
	ds_store_b64 v1, v[8:9]
.LBB50_19:
	s_or_b32 exec_lo, exec_lo, s0
	v_mov_b64_e32 v[8:9], v[6:7]
	s_mov_b32 s0, exec_lo
	s_wait_dscnt 0x0
	s_barrier_signal -1
	s_barrier_wait -1
	v_cmpx_gt_u32_e32 14, v0
; %bb.20:
	v_mad_u32_u24 v8, v0, 48, v1
	ds_load_b64 v[8:9], v8
; %bb.21:
	s_or_b32 exec_lo, exec_lo, s0
	s_branch .LBB50_32
.LBB50_22:
                                        ; implicit-def: $vgpr8_vgpr9
	s_cbranch_execz .LBB50_32
; %bb.23:
	s_mov_b32 s0, exec_lo
	v_cmpx_gt_u32_e32 42, v0
	s_cbranch_execz .LBB50_25
; %bb.24:
	s_wait_dscnt 0x0
	ds_load_2addr_b64 v[8:11], v1 offset1:56
	s_wait_dscnt 0x0
	v_add_f64_e32 v[8:9], v[10:11], v[8:9]
	ds_store_b64 v1, v[8:9]
.LBB50_25:
	s_or_b32 exec_lo, exec_lo, s0
	s_delay_alu instid0(SALU_CYCLE_1)
	s_mov_b32 s0, exec_lo
	s_wait_dscnt 0x0
	s_barrier_signal -1
	s_barrier_wait -1
	v_cmpx_gt_u32_e32 28, v0
	s_cbranch_execz .LBB50_27
; %bb.26:
	ds_load_2addr_b64 v[8:11], v1 offset1:28
	s_wait_dscnt 0x0
	v_add_f64_e32 v[8:9], v[10:11], v[8:9]
	ds_store_b64 v1, v[8:9]
.LBB50_27:
	s_or_b32 exec_lo, exec_lo, s0
	s_delay_alu instid0(SALU_CYCLE_1)
	s_mov_b32 s0, exec_lo
	s_wait_dscnt 0x0
	v_cmpx_lt_u32_e32 13, v0
	s_xor_b32 s0, exec_lo, s0
; %bb.28:
                                        ; implicit-def: $vgpr1
; %bb.29:
	s_delay_alu instid0(SALU_CYCLE_1)
	s_and_not1_saveexec_b32 s0, s0
	s_cbranch_execz .LBB50_31
; %bb.30:
	ds_load_2addr_b64 v[6:9], v1 offset1:14
	s_wait_dscnt 0x0
	v_add_f64_e32 v[6:7], v[8:9], v[6:7]
	ds_store_b64 v1, v[6:7]
	s_wait_dscnt 0x0
	ds_load_b64 v[6:7], v1
.LBB50_31:
	s_or_b32 exec_lo, exec_lo, s0
	s_wait_dscnt 0x0
	v_mov_b64_e32 v[8:9], v[6:7]
.LBB50_32:
	v_cmp_gt_u32_e32 vcc_lo, 14, v0
	s_and_b32 exec_lo, exec_lo, vcc_lo
	s_cbranch_execz .LBB50_37
; %bb.33:
	s_wait_dscnt 0x0
	s_delay_alu instid0(VALU_DEP_2)
	v_mul_f64_e32 v[4:5], v[4:5], v[8:9]
	v_mad_u32 v0, s8, 14, v0
	s_mov_b32 s0, exec_lo
	v_cmpx_eq_f64_e32 0, v[2:3]
	s_xor_b32 s0, exec_lo, s0
	s_cbranch_execz .LBB50_35
; %bb.34:
	global_store_b64 v0, v[4:5], s[2:3] scale_offset
                                        ; implicit-def: $vgpr0
                                        ; implicit-def: $vgpr2_vgpr3
                                        ; implicit-def: $vgpr4_vgpr5
.LBB50_35:
	s_wait_xcnt 0x0
	s_and_not1_saveexec_b32 s0, s0
	s_cbranch_execz .LBB50_37
; %bb.36:
	global_load_b64 v[6:7], v0, s[2:3] scale_offset
	s_wait_loadcnt 0x0
	v_fmac_f64_e32 v[4:5], v[2:3], v[6:7]
	global_store_b64 v0, v[4:5], s[2:3] scale_offset
.LBB50_37:
	s_endpgm
	.section	.rodata,"a",@progbits
	.p2align	6, 0x0
	.amdhsa_kernel _ZN9rocsparseL22gebsrmvn_mxn_16_kernelILj98ELj14ELj7EdEEvi20rocsparse_direction_NS_24const_host_device_scalarIT2_EEPKiS6_PKS3_iiS8_S4_PS3_21rocsparse_index_base_b
		.amdhsa_group_segment_fixed_size 784
		.amdhsa_private_segment_fixed_size 0
		.amdhsa_kernarg_size 80
		.amdhsa_user_sgpr_count 2
		.amdhsa_user_sgpr_dispatch_ptr 0
		.amdhsa_user_sgpr_queue_ptr 0
		.amdhsa_user_sgpr_kernarg_segment_ptr 1
		.amdhsa_user_sgpr_dispatch_id 0
		.amdhsa_user_sgpr_kernarg_preload_length 0
		.amdhsa_user_sgpr_kernarg_preload_offset 0
		.amdhsa_user_sgpr_private_segment_size 0
		.amdhsa_wavefront_size32 1
		.amdhsa_uses_dynamic_stack 0
		.amdhsa_enable_private_segment 0
		.amdhsa_system_sgpr_workgroup_id_x 1
		.amdhsa_system_sgpr_workgroup_id_y 0
		.amdhsa_system_sgpr_workgroup_id_z 0
		.amdhsa_system_sgpr_workgroup_info 0
		.amdhsa_system_vgpr_workitem_id 0
		.amdhsa_next_free_vgpr 16
		.amdhsa_next_free_sgpr 16
		.amdhsa_named_barrier_count 0
		.amdhsa_reserve_vcc 1
		.amdhsa_float_round_mode_32 0
		.amdhsa_float_round_mode_16_64 0
		.amdhsa_float_denorm_mode_32 3
		.amdhsa_float_denorm_mode_16_64 3
		.amdhsa_fp16_overflow 0
		.amdhsa_memory_ordered 1
		.amdhsa_forward_progress 1
		.amdhsa_inst_pref_size 9
		.amdhsa_round_robin_scheduling 0
		.amdhsa_exception_fp_ieee_invalid_op 0
		.amdhsa_exception_fp_denorm_src 0
		.amdhsa_exception_fp_ieee_div_zero 0
		.amdhsa_exception_fp_ieee_overflow 0
		.amdhsa_exception_fp_ieee_underflow 0
		.amdhsa_exception_fp_ieee_inexact 0
		.amdhsa_exception_int_div_zero 0
	.end_amdhsa_kernel
	.section	.text._ZN9rocsparseL22gebsrmvn_mxn_16_kernelILj98ELj14ELj7EdEEvi20rocsparse_direction_NS_24const_host_device_scalarIT2_EEPKiS6_PKS3_iiS8_S4_PS3_21rocsparse_index_base_b,"axG",@progbits,_ZN9rocsparseL22gebsrmvn_mxn_16_kernelILj98ELj14ELj7EdEEvi20rocsparse_direction_NS_24const_host_device_scalarIT2_EEPKiS6_PKS3_iiS8_S4_PS3_21rocsparse_index_base_b,comdat
.Lfunc_end50:
	.size	_ZN9rocsparseL22gebsrmvn_mxn_16_kernelILj98ELj14ELj7EdEEvi20rocsparse_direction_NS_24const_host_device_scalarIT2_EEPKiS6_PKS3_iiS8_S4_PS3_21rocsparse_index_base_b, .Lfunc_end50-_ZN9rocsparseL22gebsrmvn_mxn_16_kernelILj98ELj14ELj7EdEEvi20rocsparse_direction_NS_24const_host_device_scalarIT2_EEPKiS6_PKS3_iiS8_S4_PS3_21rocsparse_index_base_b
                                        ; -- End function
	.set _ZN9rocsparseL22gebsrmvn_mxn_16_kernelILj98ELj14ELj7EdEEvi20rocsparse_direction_NS_24const_host_device_scalarIT2_EEPKiS6_PKS3_iiS8_S4_PS3_21rocsparse_index_base_b.num_vgpr, 16
	.set _ZN9rocsparseL22gebsrmvn_mxn_16_kernelILj98ELj14ELj7EdEEvi20rocsparse_direction_NS_24const_host_device_scalarIT2_EEPKiS6_PKS3_iiS8_S4_PS3_21rocsparse_index_base_b.num_agpr, 0
	.set _ZN9rocsparseL22gebsrmvn_mxn_16_kernelILj98ELj14ELj7EdEEvi20rocsparse_direction_NS_24const_host_device_scalarIT2_EEPKiS6_PKS3_iiS8_S4_PS3_21rocsparse_index_base_b.numbered_sgpr, 16
	.set _ZN9rocsparseL22gebsrmvn_mxn_16_kernelILj98ELj14ELj7EdEEvi20rocsparse_direction_NS_24const_host_device_scalarIT2_EEPKiS6_PKS3_iiS8_S4_PS3_21rocsparse_index_base_b.num_named_barrier, 0
	.set _ZN9rocsparseL22gebsrmvn_mxn_16_kernelILj98ELj14ELj7EdEEvi20rocsparse_direction_NS_24const_host_device_scalarIT2_EEPKiS6_PKS3_iiS8_S4_PS3_21rocsparse_index_base_b.private_seg_size, 0
	.set _ZN9rocsparseL22gebsrmvn_mxn_16_kernelILj98ELj14ELj7EdEEvi20rocsparse_direction_NS_24const_host_device_scalarIT2_EEPKiS6_PKS3_iiS8_S4_PS3_21rocsparse_index_base_b.uses_vcc, 1
	.set _ZN9rocsparseL22gebsrmvn_mxn_16_kernelILj98ELj14ELj7EdEEvi20rocsparse_direction_NS_24const_host_device_scalarIT2_EEPKiS6_PKS3_iiS8_S4_PS3_21rocsparse_index_base_b.uses_flat_scratch, 0
	.set _ZN9rocsparseL22gebsrmvn_mxn_16_kernelILj98ELj14ELj7EdEEvi20rocsparse_direction_NS_24const_host_device_scalarIT2_EEPKiS6_PKS3_iiS8_S4_PS3_21rocsparse_index_base_b.has_dyn_sized_stack, 0
	.set _ZN9rocsparseL22gebsrmvn_mxn_16_kernelILj98ELj14ELj7EdEEvi20rocsparse_direction_NS_24const_host_device_scalarIT2_EEPKiS6_PKS3_iiS8_S4_PS3_21rocsparse_index_base_b.has_recursion, 0
	.set _ZN9rocsparseL22gebsrmvn_mxn_16_kernelILj98ELj14ELj7EdEEvi20rocsparse_direction_NS_24const_host_device_scalarIT2_EEPKiS6_PKS3_iiS8_S4_PS3_21rocsparse_index_base_b.has_indirect_call, 0
	.section	.AMDGPU.csdata,"",@progbits
; Kernel info:
; codeLenInByte = 1116
; TotalNumSgprs: 18
; NumVgprs: 16
; ScratchSize: 0
; MemoryBound: 0
; FloatMode: 240
; IeeeMode: 1
; LDSByteSize: 784 bytes/workgroup (compile time only)
; SGPRBlocks: 0
; VGPRBlocks: 0
; NumSGPRsForWavesPerEU: 18
; NumVGPRsForWavesPerEU: 16
; NamedBarCnt: 0
; Occupancy: 16
; WaveLimiterHint : 1
; COMPUTE_PGM_RSRC2:SCRATCH_EN: 0
; COMPUTE_PGM_RSRC2:USER_SGPR: 2
; COMPUTE_PGM_RSRC2:TRAP_HANDLER: 0
; COMPUTE_PGM_RSRC2:TGID_X_EN: 1
; COMPUTE_PGM_RSRC2:TGID_Y_EN: 0
; COMPUTE_PGM_RSRC2:TGID_Z_EN: 0
; COMPUTE_PGM_RSRC2:TIDIG_COMP_CNT: 0
	.section	.text._ZN9rocsparseL22gebsrmvn_mxn_16_kernelILj112ELj14ELj8EdEEvi20rocsparse_direction_NS_24const_host_device_scalarIT2_EEPKiS6_PKS3_iiS8_S4_PS3_21rocsparse_index_base_b,"axG",@progbits,_ZN9rocsparseL22gebsrmvn_mxn_16_kernelILj112ELj14ELj8EdEEvi20rocsparse_direction_NS_24const_host_device_scalarIT2_EEPKiS6_PKS3_iiS8_S4_PS3_21rocsparse_index_base_b,comdat
	.globl	_ZN9rocsparseL22gebsrmvn_mxn_16_kernelILj112ELj14ELj8EdEEvi20rocsparse_direction_NS_24const_host_device_scalarIT2_EEPKiS6_PKS3_iiS8_S4_PS3_21rocsparse_index_base_b ; -- Begin function _ZN9rocsparseL22gebsrmvn_mxn_16_kernelILj112ELj14ELj8EdEEvi20rocsparse_direction_NS_24const_host_device_scalarIT2_EEPKiS6_PKS3_iiS8_S4_PS3_21rocsparse_index_base_b
	.p2align	8
	.type	_ZN9rocsparseL22gebsrmvn_mxn_16_kernelILj112ELj14ELj8EdEEvi20rocsparse_direction_NS_24const_host_device_scalarIT2_EEPKiS6_PKS3_iiS8_S4_PS3_21rocsparse_index_base_b,@function
_ZN9rocsparseL22gebsrmvn_mxn_16_kernelILj112ELj14ELj8EdEEvi20rocsparse_direction_NS_24const_host_device_scalarIT2_EEPKiS6_PKS3_iiS8_S4_PS3_21rocsparse_index_base_b: ; @_ZN9rocsparseL22gebsrmvn_mxn_16_kernelILj112ELj14ELj8EdEEvi20rocsparse_direction_NS_24const_host_device_scalarIT2_EEPKiS6_PKS3_iiS8_S4_PS3_21rocsparse_index_base_b
; %bb.0:
	s_clause 0x2
	s_load_b64 s[10:11], s[0:1], 0x48
	s_load_b64 s[4:5], s[0:1], 0x8
	;; [unrolled: 1-line block ×3, first 2 shown]
	s_wait_kmcnt 0x0
	s_bitcmp1_b32 s11, 0
	v_mov_b64_e32 v[4:5], s[4:5]
	s_cselect_b32 s6, -1, 0
	s_delay_alu instid0(SALU_CYCLE_1)
	s_and_b32 vcc_lo, exec_lo, s6
	s_xor_b32 s6, s6, -1
	s_cbranch_vccnz .LBB51_2
; %bb.1:
	v_mov_b32_e32 v1, 0
	flat_load_b64 v[4:5], v1, s[4:5]
.LBB51_2:
	v_mov_b64_e32 v[2:3], s[2:3]
	s_and_not1_b32 vcc_lo, exec_lo, s6
	s_cbranch_vccnz .LBB51_4
; %bb.3:
	s_wait_xcnt 0x0
	v_mov_b32_e32 v1, 0
	flat_load_b64 v[2:3], v1, s[2:3]
.LBB51_4:
	s_wait_loadcnt_dscnt 0x0
	v_cmp_neq_f64_e32 vcc_lo, 0, v[4:5]
	s_delay_alu instid0(VALU_DEP_2) | instskip(SKIP_1) | instid1(SALU_CYCLE_1)
	v_cmp_neq_f64_e64 s2, 1.0, v[2:3]
	s_or_b32 s2, vcc_lo, s2
	s_and_saveexec_b32 s3, s2
	s_cbranch_execz .LBB51_37
; %bb.5:
	s_clause 0x1
	s_load_b32 s4, s[0:1], 0x4
	s_load_b64 s[2:3], s[0:1], 0x10
	v_and_b32_e32 v8, 7, v0
	s_delay_alu instid0(VALU_DEP_1) | instskip(SKIP_3) | instid1(SALU_CYCLE_1)
	v_mov_b32_e32 v1, v8
	s_wait_kmcnt 0x0
	s_cmp_lg_u32 s4, 1
	s_cselect_b32 s11, -1, 0
	s_and_b32 vcc_lo, exec_lo, s11
	s_cbranch_vccnz .LBB51_7
; %bb.6:
	v_mul_u32_u24_e32 v1, 0x124a, v0
	s_delay_alu instid0(VALU_DEP_1)
	v_bfe_u32 v1, v1, 16, 3
.LBB51_7:
	s_bfe_u32 s4, ttmp6, 0x4000c
	s_and_b32 s5, ttmp6, 15
	s_add_co_i32 s4, s4, 1
	s_getreg_b32 s6, hwreg(HW_REG_IB_STS2, 6, 4)
	s_mul_i32 s4, ttmp9, s4
	v_mov_b64_e32 v[6:7], 0
	s_add_co_i32 s5, s5, s4
	s_cmp_eq_u32 s6, 0
	s_cselect_b32 s8, ttmp9, s5
	s_delay_alu instid0(SALU_CYCLE_1) | instskip(NEXT) | instid1(SALU_CYCLE_1)
	s_ashr_i32 s9, s8, 31
	s_lshl_b64 s[4:5], s[8:9], 2
	s_delay_alu instid0(SALU_CYCLE_1)
	s_add_nc_u64 s[4:5], s[2:3], s[4:5]
	s_load_b64 s[14:15], s[4:5], 0x0
	s_load_b64 s[2:3], s[0:1], 0x40
	s_wait_kmcnt 0x0
	s_cmp_ge_i32 s14, s15
	s_cbranch_scc1 .LBB51_12
; %bb.8:
	s_clause 0x1
	s_load_b128 s[4:7], s[0:1], 0x18
	s_load_b64 s[12:13], s[0:1], 0x30
	v_mad_u32 v10, 0x70, s14, v0
	v_mul_u32_u24_e32 v9, 0x24a, v0
	s_wait_xcnt 0x0
	s_mul_i32 s0, s10, 0x70
	v_mov_b64_e32 v[6:7], 0
	s_sub_co_i32 s1, s14, s10
	v_lshrrev_b32_e32 v9, 16, v9
	s_delay_alu instid0(VALU_DEP_4)
	v_subrev_nc_u32_e32 v10, s0, v10
	s_sub_co_i32 s0, s15, s10
	s_branch .LBB51_10
.LBB51_9:                               ;   in Loop: Header=BB51_10 Depth=1
	s_or_b32 exec_lo, exec_lo, s9
	v_add_nc_u32_e32 v10, 0x70, v10
	s_add_co_i32 s1, s1, 1
	s_delay_alu instid0(SALU_CYCLE_1)
	s_cmp_ge_i32 s1, s0
	s_cbranch_scc1 .LBB51_12
.LBB51_10:                              ; =>This Inner Loop Header: Depth=1
	s_delay_alu instid0(VALU_DEP_2) | instskip(SKIP_1) | instid1(VALU_DEP_1)
	v_add_nc_u32_e32 v11, s1, v9
	s_mov_b32 s9, exec_lo
	v_cmpx_gt_i32_e64 s0, v11
	s_cbranch_execz .LBB51_9
; %bb.11:                               ;   in Loop: Header=BB51_10 Depth=1
	s_wait_kmcnt 0x0
	global_load_b32 v11, v11, s[4:5] scale_offset
	s_wait_loadcnt 0x0
	v_subrev_nc_u32_e32 v11, s10, v11
	s_delay_alu instid0(VALU_DEP_1)
	v_lshl_or_b32 v11, v11, 3, v1
	global_load_b64 v[12:13], v10, s[6:7] scale_offset
	global_load_b64 v[14:15], v11, s[12:13] scale_offset
	s_wait_loadcnt 0x0
	v_fmac_f64_e32 v[6:7], v[12:13], v[14:15]
	s_branch .LBB51_9
.LBB51_12:
	v_lshlrev_b32_e32 v1, 3, v0
	s_and_b32 vcc_lo, exec_lo, s11
	ds_store_b64 v1, v[6:7]
	s_wait_dscnt 0x0
	s_barrier_signal -1
	s_barrier_wait -1
	s_cbranch_vccz .LBB51_22
; %bb.13:
	s_mov_b32 s0, exec_lo
	v_cmpx_gt_u32_e32 4, v8
	s_cbranch_execz .LBB51_15
; %bb.14:
	ds_load_2addr_b64 v[10:13], v1 offset1:4
	s_wait_dscnt 0x0
	v_add_f64_e32 v[10:11], v[12:13], v[10:11]
	ds_store_b64 v1, v[10:11]
.LBB51_15:
	s_or_b32 exec_lo, exec_lo, s0
	s_delay_alu instid0(SALU_CYCLE_1)
	s_mov_b32 s0, exec_lo
	s_wait_dscnt 0x0
	s_barrier_signal -1
	s_barrier_wait -1
	v_cmpx_gt_u32_e32 2, v8
	s_cbranch_execz .LBB51_17
; %bb.16:
	ds_load_2addr_b64 v[10:13], v1 offset1:2
	s_wait_dscnt 0x0
	v_add_f64_e32 v[10:11], v[12:13], v[10:11]
	ds_store_b64 v1, v[10:11]
.LBB51_17:
	s_or_b32 exec_lo, exec_lo, s0
	s_delay_alu instid0(SALU_CYCLE_1)
	s_mov_b32 s0, exec_lo
	s_wait_dscnt 0x0
	s_barrier_signal -1
	s_barrier_wait -1
	v_cmpx_eq_u32_e32 0, v8
	s_cbranch_execz .LBB51_19
; %bb.18:
	ds_load_2addr_b64 v[8:11], v1 offset1:1
	s_wait_dscnt 0x0
	v_add_f64_e32 v[8:9], v[10:11], v[8:9]
	ds_store_b64 v1, v[8:9]
.LBB51_19:
	s_or_b32 exec_lo, exec_lo, s0
	v_mov_b64_e32 v[8:9], v[6:7]
	s_mov_b32 s0, exec_lo
	s_wait_dscnt 0x0
	s_barrier_signal -1
	s_barrier_wait -1
	v_cmpx_gt_u32_e32 14, v0
; %bb.20:
	v_mad_u32_u24 v8, v0, 56, v1
	ds_load_b64 v[8:9], v8
; %bb.21:
	s_or_b32 exec_lo, exec_lo, s0
	s_branch .LBB51_32
.LBB51_22:
                                        ; implicit-def: $vgpr8_vgpr9
	s_cbranch_execz .LBB51_32
; %bb.23:
	s_mov_b32 s0, exec_lo
	v_cmpx_gt_u32_e32 56, v0
	s_cbranch_execz .LBB51_25
; %bb.24:
	s_wait_dscnt 0x0
	ds_load_2addr_b64 v[8:11], v1 offset1:56
	s_wait_dscnt 0x0
	v_add_f64_e32 v[8:9], v[10:11], v[8:9]
	ds_store_b64 v1, v[8:9]
.LBB51_25:
	s_or_b32 exec_lo, exec_lo, s0
	s_delay_alu instid0(SALU_CYCLE_1)
	s_mov_b32 s0, exec_lo
	s_wait_dscnt 0x0
	s_barrier_signal -1
	s_barrier_wait -1
	v_cmpx_gt_u32_e32 28, v0
	s_cbranch_execz .LBB51_27
; %bb.26:
	ds_load_2addr_b64 v[8:11], v1 offset1:28
	s_wait_dscnt 0x0
	v_add_f64_e32 v[8:9], v[10:11], v[8:9]
	ds_store_b64 v1, v[8:9]
.LBB51_27:
	s_or_b32 exec_lo, exec_lo, s0
	s_delay_alu instid0(SALU_CYCLE_1)
	s_mov_b32 s0, exec_lo
	s_wait_dscnt 0x0
	v_cmpx_lt_u32_e32 13, v0
	s_xor_b32 s0, exec_lo, s0
; %bb.28:
                                        ; implicit-def: $vgpr1
; %bb.29:
	s_delay_alu instid0(SALU_CYCLE_1)
	s_and_not1_saveexec_b32 s0, s0
	s_cbranch_execz .LBB51_31
; %bb.30:
	ds_load_2addr_b64 v[6:9], v1 offset1:14
	s_wait_dscnt 0x0
	v_add_f64_e32 v[6:7], v[8:9], v[6:7]
	ds_store_b64 v1, v[6:7]
	s_wait_dscnt 0x0
	ds_load_b64 v[6:7], v1
.LBB51_31:
	s_or_b32 exec_lo, exec_lo, s0
	s_wait_dscnt 0x0
	v_mov_b64_e32 v[8:9], v[6:7]
.LBB51_32:
	v_cmp_gt_u32_e32 vcc_lo, 14, v0
	s_and_b32 exec_lo, exec_lo, vcc_lo
	s_cbranch_execz .LBB51_37
; %bb.33:
	s_wait_dscnt 0x0
	s_delay_alu instid0(VALU_DEP_2)
	v_mul_f64_e32 v[4:5], v[4:5], v[8:9]
	v_mad_u32 v0, s8, 14, v0
	s_mov_b32 s0, exec_lo
	v_cmpx_eq_f64_e32 0, v[2:3]
	s_xor_b32 s0, exec_lo, s0
	s_cbranch_execz .LBB51_35
; %bb.34:
	global_store_b64 v0, v[4:5], s[2:3] scale_offset
                                        ; implicit-def: $vgpr0
                                        ; implicit-def: $vgpr2_vgpr3
                                        ; implicit-def: $vgpr4_vgpr5
.LBB51_35:
	s_wait_xcnt 0x0
	s_and_not1_saveexec_b32 s0, s0
	s_cbranch_execz .LBB51_37
; %bb.36:
	global_load_b64 v[6:7], v0, s[2:3] scale_offset
	s_wait_loadcnt 0x0
	v_fmac_f64_e32 v[4:5], v[2:3], v[6:7]
	global_store_b64 v0, v[4:5], s[2:3] scale_offset
.LBB51_37:
	s_endpgm
	.section	.rodata,"a",@progbits
	.p2align	6, 0x0
	.amdhsa_kernel _ZN9rocsparseL22gebsrmvn_mxn_16_kernelILj112ELj14ELj8EdEEvi20rocsparse_direction_NS_24const_host_device_scalarIT2_EEPKiS6_PKS3_iiS8_S4_PS3_21rocsparse_index_base_b
		.amdhsa_group_segment_fixed_size 896
		.amdhsa_private_segment_fixed_size 0
		.amdhsa_kernarg_size 80
		.amdhsa_user_sgpr_count 2
		.amdhsa_user_sgpr_dispatch_ptr 0
		.amdhsa_user_sgpr_queue_ptr 0
		.amdhsa_user_sgpr_kernarg_segment_ptr 1
		.amdhsa_user_sgpr_dispatch_id 0
		.amdhsa_user_sgpr_kernarg_preload_length 0
		.amdhsa_user_sgpr_kernarg_preload_offset 0
		.amdhsa_user_sgpr_private_segment_size 0
		.amdhsa_wavefront_size32 1
		.amdhsa_uses_dynamic_stack 0
		.amdhsa_enable_private_segment 0
		.amdhsa_system_sgpr_workgroup_id_x 1
		.amdhsa_system_sgpr_workgroup_id_y 0
		.amdhsa_system_sgpr_workgroup_id_z 0
		.amdhsa_system_sgpr_workgroup_info 0
		.amdhsa_system_vgpr_workitem_id 0
		.amdhsa_next_free_vgpr 16
		.amdhsa_next_free_sgpr 16
		.amdhsa_named_barrier_count 0
		.amdhsa_reserve_vcc 1
		.amdhsa_float_round_mode_32 0
		.amdhsa_float_round_mode_16_64 0
		.amdhsa_float_denorm_mode_32 3
		.amdhsa_float_denorm_mode_16_64 3
		.amdhsa_fp16_overflow 0
		.amdhsa_memory_ordered 1
		.amdhsa_forward_progress 1
		.amdhsa_inst_pref_size 9
		.amdhsa_round_robin_scheduling 0
		.amdhsa_exception_fp_ieee_invalid_op 0
		.amdhsa_exception_fp_denorm_src 0
		.amdhsa_exception_fp_ieee_div_zero 0
		.amdhsa_exception_fp_ieee_overflow 0
		.amdhsa_exception_fp_ieee_underflow 0
		.amdhsa_exception_fp_ieee_inexact 0
		.amdhsa_exception_int_div_zero 0
	.end_amdhsa_kernel
	.section	.text._ZN9rocsparseL22gebsrmvn_mxn_16_kernelILj112ELj14ELj8EdEEvi20rocsparse_direction_NS_24const_host_device_scalarIT2_EEPKiS6_PKS3_iiS8_S4_PS3_21rocsparse_index_base_b,"axG",@progbits,_ZN9rocsparseL22gebsrmvn_mxn_16_kernelILj112ELj14ELj8EdEEvi20rocsparse_direction_NS_24const_host_device_scalarIT2_EEPKiS6_PKS3_iiS8_S4_PS3_21rocsparse_index_base_b,comdat
.Lfunc_end51:
	.size	_ZN9rocsparseL22gebsrmvn_mxn_16_kernelILj112ELj14ELj8EdEEvi20rocsparse_direction_NS_24const_host_device_scalarIT2_EEPKiS6_PKS3_iiS8_S4_PS3_21rocsparse_index_base_b, .Lfunc_end51-_ZN9rocsparseL22gebsrmvn_mxn_16_kernelILj112ELj14ELj8EdEEvi20rocsparse_direction_NS_24const_host_device_scalarIT2_EEPKiS6_PKS3_iiS8_S4_PS3_21rocsparse_index_base_b
                                        ; -- End function
	.set _ZN9rocsparseL22gebsrmvn_mxn_16_kernelILj112ELj14ELj8EdEEvi20rocsparse_direction_NS_24const_host_device_scalarIT2_EEPKiS6_PKS3_iiS8_S4_PS3_21rocsparse_index_base_b.num_vgpr, 16
	.set _ZN9rocsparseL22gebsrmvn_mxn_16_kernelILj112ELj14ELj8EdEEvi20rocsparse_direction_NS_24const_host_device_scalarIT2_EEPKiS6_PKS3_iiS8_S4_PS3_21rocsparse_index_base_b.num_agpr, 0
	.set _ZN9rocsparseL22gebsrmvn_mxn_16_kernelILj112ELj14ELj8EdEEvi20rocsparse_direction_NS_24const_host_device_scalarIT2_EEPKiS6_PKS3_iiS8_S4_PS3_21rocsparse_index_base_b.numbered_sgpr, 16
	.set _ZN9rocsparseL22gebsrmvn_mxn_16_kernelILj112ELj14ELj8EdEEvi20rocsparse_direction_NS_24const_host_device_scalarIT2_EEPKiS6_PKS3_iiS8_S4_PS3_21rocsparse_index_base_b.num_named_barrier, 0
	.set _ZN9rocsparseL22gebsrmvn_mxn_16_kernelILj112ELj14ELj8EdEEvi20rocsparse_direction_NS_24const_host_device_scalarIT2_EEPKiS6_PKS3_iiS8_S4_PS3_21rocsparse_index_base_b.private_seg_size, 0
	.set _ZN9rocsparseL22gebsrmvn_mxn_16_kernelILj112ELj14ELj8EdEEvi20rocsparse_direction_NS_24const_host_device_scalarIT2_EEPKiS6_PKS3_iiS8_S4_PS3_21rocsparse_index_base_b.uses_vcc, 1
	.set _ZN9rocsparseL22gebsrmvn_mxn_16_kernelILj112ELj14ELj8EdEEvi20rocsparse_direction_NS_24const_host_device_scalarIT2_EEPKiS6_PKS3_iiS8_S4_PS3_21rocsparse_index_base_b.uses_flat_scratch, 0
	.set _ZN9rocsparseL22gebsrmvn_mxn_16_kernelILj112ELj14ELj8EdEEvi20rocsparse_direction_NS_24const_host_device_scalarIT2_EEPKiS6_PKS3_iiS8_S4_PS3_21rocsparse_index_base_b.has_dyn_sized_stack, 0
	.set _ZN9rocsparseL22gebsrmvn_mxn_16_kernelILj112ELj14ELj8EdEEvi20rocsparse_direction_NS_24const_host_device_scalarIT2_EEPKiS6_PKS3_iiS8_S4_PS3_21rocsparse_index_base_b.has_recursion, 0
	.set _ZN9rocsparseL22gebsrmvn_mxn_16_kernelILj112ELj14ELj8EdEEvi20rocsparse_direction_NS_24const_host_device_scalarIT2_EEPKiS6_PKS3_iiS8_S4_PS3_21rocsparse_index_base_b.has_indirect_call, 0
	.section	.AMDGPU.csdata,"",@progbits
; Kernel info:
; codeLenInByte = 1028
; TotalNumSgprs: 18
; NumVgprs: 16
; ScratchSize: 0
; MemoryBound: 0
; FloatMode: 240
; IeeeMode: 1
; LDSByteSize: 896 bytes/workgroup (compile time only)
; SGPRBlocks: 0
; VGPRBlocks: 0
; NumSGPRsForWavesPerEU: 18
; NumVGPRsForWavesPerEU: 16
; NamedBarCnt: 0
; Occupancy: 16
; WaveLimiterHint : 1
; COMPUTE_PGM_RSRC2:SCRATCH_EN: 0
; COMPUTE_PGM_RSRC2:USER_SGPR: 2
; COMPUTE_PGM_RSRC2:TRAP_HANDLER: 0
; COMPUTE_PGM_RSRC2:TGID_X_EN: 1
; COMPUTE_PGM_RSRC2:TGID_Y_EN: 0
; COMPUTE_PGM_RSRC2:TGID_Z_EN: 0
; COMPUTE_PGM_RSRC2:TIDIG_COMP_CNT: 0
	.section	.text._ZN9rocsparseL22gebsrmvn_mxn_16_kernelILj60ELj15ELj1EdEEvi20rocsparse_direction_NS_24const_host_device_scalarIT2_EEPKiS6_PKS3_iiS8_S4_PS3_21rocsparse_index_base_b,"axG",@progbits,_ZN9rocsparseL22gebsrmvn_mxn_16_kernelILj60ELj15ELj1EdEEvi20rocsparse_direction_NS_24const_host_device_scalarIT2_EEPKiS6_PKS3_iiS8_S4_PS3_21rocsparse_index_base_b,comdat
	.globl	_ZN9rocsparseL22gebsrmvn_mxn_16_kernelILj60ELj15ELj1EdEEvi20rocsparse_direction_NS_24const_host_device_scalarIT2_EEPKiS6_PKS3_iiS8_S4_PS3_21rocsparse_index_base_b ; -- Begin function _ZN9rocsparseL22gebsrmvn_mxn_16_kernelILj60ELj15ELj1EdEEvi20rocsparse_direction_NS_24const_host_device_scalarIT2_EEPKiS6_PKS3_iiS8_S4_PS3_21rocsparse_index_base_b
	.p2align	8
	.type	_ZN9rocsparseL22gebsrmvn_mxn_16_kernelILj60ELj15ELj1EdEEvi20rocsparse_direction_NS_24const_host_device_scalarIT2_EEPKiS6_PKS3_iiS8_S4_PS3_21rocsparse_index_base_b,@function
_ZN9rocsparseL22gebsrmvn_mxn_16_kernelILj60ELj15ELj1EdEEvi20rocsparse_direction_NS_24const_host_device_scalarIT2_EEPKiS6_PKS3_iiS8_S4_PS3_21rocsparse_index_base_b: ; @_ZN9rocsparseL22gebsrmvn_mxn_16_kernelILj60ELj15ELj1EdEEvi20rocsparse_direction_NS_24const_host_device_scalarIT2_EEPKiS6_PKS3_iiS8_S4_PS3_21rocsparse_index_base_b
; %bb.0:
	s_clause 0x2
	s_load_b64 s[10:11], s[0:1], 0x48
	s_load_b64 s[4:5], s[0:1], 0x8
	;; [unrolled: 1-line block ×3, first 2 shown]
	s_wait_kmcnt 0x0
	s_bitcmp1_b32 s11, 0
	v_mov_b64_e32 v[4:5], s[4:5]
	s_cselect_b32 s6, -1, 0
	s_delay_alu instid0(SALU_CYCLE_1)
	s_and_b32 vcc_lo, exec_lo, s6
	s_xor_b32 s6, s6, -1
	s_cbranch_vccnz .LBB52_2
; %bb.1:
	v_mov_b32_e32 v1, 0
	flat_load_b64 v[4:5], v1, s[4:5]
.LBB52_2:
	v_mov_b64_e32 v[2:3], s[2:3]
	s_and_not1_b32 vcc_lo, exec_lo, s6
	s_cbranch_vccnz .LBB52_4
; %bb.3:
	s_wait_xcnt 0x0
	v_mov_b32_e32 v1, 0
	flat_load_b64 v[2:3], v1, s[2:3]
.LBB52_4:
	s_wait_loadcnt_dscnt 0x0
	v_cmp_neq_f64_e32 vcc_lo, 0, v[4:5]
	s_delay_alu instid0(VALU_DEP_2) | instskip(SKIP_1) | instid1(SALU_CYCLE_1)
	v_cmp_neq_f64_e64 s2, 1.0, v[2:3]
	s_or_b32 s2, vcc_lo, s2
	s_and_saveexec_b32 s3, s2
	s_cbranch_execz .LBB52_21
; %bb.5:
	s_load_b64 s[2:3], s[0:1], 0x10
	s_bfe_u32 s4, ttmp6, 0x4000c
	s_and_b32 s5, ttmp6, 15
	s_add_co_i32 s4, s4, 1
	s_getreg_b32 s6, hwreg(HW_REG_IB_STS2, 6, 4)
	s_mul_i32 s4, ttmp9, s4
	s_delay_alu instid0(SALU_CYCLE_1) | instskip(SKIP_2) | instid1(SALU_CYCLE_1)
	s_add_co_i32 s5, s5, s4
	s_cmp_eq_u32 s6, 0
	s_cselect_b32 s8, ttmp9, s5
	s_ashr_i32 s9, s8, 31
	s_delay_alu instid0(SALU_CYCLE_1)
	s_lshl_b64 s[4:5], s[8:9], 2
	s_wait_kmcnt 0x0
	s_add_nc_u64 s[2:3], s[2:3], s[4:5]
	s_mov_b32 s4, 0
	s_load_b64 s[14:15], s[2:3], 0x0
	s_wait_kmcnt 0x0
	s_cmp_lt_i32 s14, s15
	s_cbranch_scc0 .LBB52_7
; %bb.6:
	s_mov_b32 s4, -1
.LBB52_7:
	s_load_b64 s[2:3], s[0:1], 0x40
	v_mov_b64_e32 v[6:7], 0
	s_and_not1_b32 vcc_lo, exec_lo, s4
	s_cbranch_vccnz .LBB52_12
; %bb.8:
	s_clause 0x1
	s_load_b128 s[4:7], s[0:1], 0x18
	s_load_b64 s[12:13], s[0:1], 0x30
	v_mad_u32 v8, s14, 15, v0
	v_mul_u32_u24_e32 v1, 0x1112, v0
	s_wait_xcnt 0x0
	s_mul_i32 s0, s10, 15
	v_mov_b64_e32 v[6:7], 0
	s_sub_co_i32 s1, s14, s10
	v_lshrrev_b32_e32 v1, 16, v1
	s_delay_alu instid0(VALU_DEP_4)
	v_subrev_nc_u32_e32 v8, s0, v8
	s_sub_co_i32 s0, s15, s10
	s_branch .LBB52_10
.LBB52_9:                               ;   in Loop: Header=BB52_10 Depth=1
	s_or_b32 exec_lo, exec_lo, s9
	v_add_nc_u32_e32 v8, 60, v8
	s_add_co_i32 s1, s1, 4
	s_delay_alu instid0(SALU_CYCLE_1)
	s_cmp_ge_i32 s1, s0
	s_cbranch_scc1 .LBB52_12
.LBB52_10:                              ; =>This Inner Loop Header: Depth=1
	s_delay_alu instid0(VALU_DEP_2) | instskip(SKIP_1) | instid1(VALU_DEP_1)
	v_add_nc_u32_e32 v9, s1, v1
	s_mov_b32 s9, exec_lo
	v_cmpx_gt_i32_e64 s0, v9
	s_cbranch_execz .LBB52_9
; %bb.11:                               ;   in Loop: Header=BB52_10 Depth=1
	s_wait_kmcnt 0x0
	global_load_b32 v9, v9, s[4:5] scale_offset
	s_wait_loadcnt 0x0
	v_subrev_nc_u32_e32 v9, s10, v9
	global_load_b64 v[10:11], v8, s[6:7] scale_offset
	global_load_b64 v[12:13], v9, s[12:13] scale_offset
	s_wait_loadcnt 0x0
	v_fmac_f64_e32 v[6:7], v[10:11], v[12:13]
	s_branch .LBB52_9
.LBB52_12:
	v_lshlrev_b32_e32 v1, 3, v0
	s_wait_xcnt 0x0
	s_mov_b32 s0, exec_lo
	ds_store_b64 v1, v[6:7]
	s_wait_dscnt 0x0
	s_barrier_signal -1
	s_barrier_wait -1
	v_cmpx_gt_u32_e32 30, v0
	s_cbranch_execz .LBB52_14
; %bb.13:
	ds_load_2addr_b64 v[6:9], v1 offset1:30
	s_wait_dscnt 0x0
	v_add_f64_e32 v[6:7], v[8:9], v[6:7]
	ds_store_b64 v1, v[6:7]
.LBB52_14:
	s_or_b32 exec_lo, exec_lo, s0
	v_cmp_gt_u32_e32 vcc_lo, 15, v0
	s_wait_dscnt 0x0
	s_barrier_signal -1
	s_barrier_wait -1
	s_and_saveexec_b32 s0, vcc_lo
	s_cbranch_execz .LBB52_16
; %bb.15:
	ds_load_2addr_b64 v[6:9], v1 offset1:15
	s_wait_dscnt 0x0
	v_add_f64_e32 v[6:7], v[8:9], v[6:7]
	ds_store_b64 v1, v[6:7]
.LBB52_16:
	s_or_b32 exec_lo, exec_lo, s0
	s_wait_dscnt 0x0
	s_barrier_signal -1
	s_barrier_wait -1
	s_and_b32 exec_lo, exec_lo, vcc_lo
	s_cbranch_execz .LBB52_21
; %bb.17:
	ds_load_b64 v[6:7], v1
	v_mad_u32 v0, s8, 15, v0
	s_mov_b32 s0, exec_lo
	s_wait_dscnt 0x0
	v_mul_f64_e32 v[4:5], v[4:5], v[6:7]
	v_cmpx_eq_f64_e32 0, v[2:3]
	s_xor_b32 s0, exec_lo, s0
	s_cbranch_execz .LBB52_19
; %bb.18:
	s_wait_kmcnt 0x0
	global_store_b64 v0, v[4:5], s[2:3] scale_offset
                                        ; implicit-def: $vgpr0
                                        ; implicit-def: $vgpr2_vgpr3
                                        ; implicit-def: $vgpr4_vgpr5
.LBB52_19:
	s_wait_xcnt 0x0
	s_and_not1_saveexec_b32 s0, s0
	s_cbranch_execz .LBB52_21
; %bb.20:
	s_wait_kmcnt 0x0
	global_load_b64 v[6:7], v0, s[2:3] scale_offset
	s_wait_loadcnt 0x0
	v_fmac_f64_e32 v[4:5], v[2:3], v[6:7]
	global_store_b64 v0, v[4:5], s[2:3] scale_offset
.LBB52_21:
	s_endpgm
	.section	.rodata,"a",@progbits
	.p2align	6, 0x0
	.amdhsa_kernel _ZN9rocsparseL22gebsrmvn_mxn_16_kernelILj60ELj15ELj1EdEEvi20rocsparse_direction_NS_24const_host_device_scalarIT2_EEPKiS6_PKS3_iiS8_S4_PS3_21rocsparse_index_base_b
		.amdhsa_group_segment_fixed_size 480
		.amdhsa_private_segment_fixed_size 0
		.amdhsa_kernarg_size 80
		.amdhsa_user_sgpr_count 2
		.amdhsa_user_sgpr_dispatch_ptr 0
		.amdhsa_user_sgpr_queue_ptr 0
		.amdhsa_user_sgpr_kernarg_segment_ptr 1
		.amdhsa_user_sgpr_dispatch_id 0
		.amdhsa_user_sgpr_kernarg_preload_length 0
		.amdhsa_user_sgpr_kernarg_preload_offset 0
		.amdhsa_user_sgpr_private_segment_size 0
		.amdhsa_wavefront_size32 1
		.amdhsa_uses_dynamic_stack 0
		.amdhsa_enable_private_segment 0
		.amdhsa_system_sgpr_workgroup_id_x 1
		.amdhsa_system_sgpr_workgroup_id_y 0
		.amdhsa_system_sgpr_workgroup_id_z 0
		.amdhsa_system_sgpr_workgroup_info 0
		.amdhsa_system_vgpr_workitem_id 0
		.amdhsa_next_free_vgpr 14
		.amdhsa_next_free_sgpr 16
		.amdhsa_named_barrier_count 0
		.amdhsa_reserve_vcc 1
		.amdhsa_float_round_mode_32 0
		.amdhsa_float_round_mode_16_64 0
		.amdhsa_float_denorm_mode_32 3
		.amdhsa_float_denorm_mode_16_64 3
		.amdhsa_fp16_overflow 0
		.amdhsa_memory_ordered 1
		.amdhsa_forward_progress 1
		.amdhsa_inst_pref_size 6
		.amdhsa_round_robin_scheduling 0
		.amdhsa_exception_fp_ieee_invalid_op 0
		.amdhsa_exception_fp_denorm_src 0
		.amdhsa_exception_fp_ieee_div_zero 0
		.amdhsa_exception_fp_ieee_overflow 0
		.amdhsa_exception_fp_ieee_underflow 0
		.amdhsa_exception_fp_ieee_inexact 0
		.amdhsa_exception_int_div_zero 0
	.end_amdhsa_kernel
	.section	.text._ZN9rocsparseL22gebsrmvn_mxn_16_kernelILj60ELj15ELj1EdEEvi20rocsparse_direction_NS_24const_host_device_scalarIT2_EEPKiS6_PKS3_iiS8_S4_PS3_21rocsparse_index_base_b,"axG",@progbits,_ZN9rocsparseL22gebsrmvn_mxn_16_kernelILj60ELj15ELj1EdEEvi20rocsparse_direction_NS_24const_host_device_scalarIT2_EEPKiS6_PKS3_iiS8_S4_PS3_21rocsparse_index_base_b,comdat
.Lfunc_end52:
	.size	_ZN9rocsparseL22gebsrmvn_mxn_16_kernelILj60ELj15ELj1EdEEvi20rocsparse_direction_NS_24const_host_device_scalarIT2_EEPKiS6_PKS3_iiS8_S4_PS3_21rocsparse_index_base_b, .Lfunc_end52-_ZN9rocsparseL22gebsrmvn_mxn_16_kernelILj60ELj15ELj1EdEEvi20rocsparse_direction_NS_24const_host_device_scalarIT2_EEPKiS6_PKS3_iiS8_S4_PS3_21rocsparse_index_base_b
                                        ; -- End function
	.set _ZN9rocsparseL22gebsrmvn_mxn_16_kernelILj60ELj15ELj1EdEEvi20rocsparse_direction_NS_24const_host_device_scalarIT2_EEPKiS6_PKS3_iiS8_S4_PS3_21rocsparse_index_base_b.num_vgpr, 14
	.set _ZN9rocsparseL22gebsrmvn_mxn_16_kernelILj60ELj15ELj1EdEEvi20rocsparse_direction_NS_24const_host_device_scalarIT2_EEPKiS6_PKS3_iiS8_S4_PS3_21rocsparse_index_base_b.num_agpr, 0
	.set _ZN9rocsparseL22gebsrmvn_mxn_16_kernelILj60ELj15ELj1EdEEvi20rocsparse_direction_NS_24const_host_device_scalarIT2_EEPKiS6_PKS3_iiS8_S4_PS3_21rocsparse_index_base_b.numbered_sgpr, 16
	.set _ZN9rocsparseL22gebsrmvn_mxn_16_kernelILj60ELj15ELj1EdEEvi20rocsparse_direction_NS_24const_host_device_scalarIT2_EEPKiS6_PKS3_iiS8_S4_PS3_21rocsparse_index_base_b.num_named_barrier, 0
	.set _ZN9rocsparseL22gebsrmvn_mxn_16_kernelILj60ELj15ELj1EdEEvi20rocsparse_direction_NS_24const_host_device_scalarIT2_EEPKiS6_PKS3_iiS8_S4_PS3_21rocsparse_index_base_b.private_seg_size, 0
	.set _ZN9rocsparseL22gebsrmvn_mxn_16_kernelILj60ELj15ELj1EdEEvi20rocsparse_direction_NS_24const_host_device_scalarIT2_EEPKiS6_PKS3_iiS8_S4_PS3_21rocsparse_index_base_b.uses_vcc, 1
	.set _ZN9rocsparseL22gebsrmvn_mxn_16_kernelILj60ELj15ELj1EdEEvi20rocsparse_direction_NS_24const_host_device_scalarIT2_EEPKiS6_PKS3_iiS8_S4_PS3_21rocsparse_index_base_b.uses_flat_scratch, 0
	.set _ZN9rocsparseL22gebsrmvn_mxn_16_kernelILj60ELj15ELj1EdEEvi20rocsparse_direction_NS_24const_host_device_scalarIT2_EEPKiS6_PKS3_iiS8_S4_PS3_21rocsparse_index_base_b.has_dyn_sized_stack, 0
	.set _ZN9rocsparseL22gebsrmvn_mxn_16_kernelILj60ELj15ELj1EdEEvi20rocsparse_direction_NS_24const_host_device_scalarIT2_EEPKiS6_PKS3_iiS8_S4_PS3_21rocsparse_index_base_b.has_recursion, 0
	.set _ZN9rocsparseL22gebsrmvn_mxn_16_kernelILj60ELj15ELj1EdEEvi20rocsparse_direction_NS_24const_host_device_scalarIT2_EEPKiS6_PKS3_iiS8_S4_PS3_21rocsparse_index_base_b.has_indirect_call, 0
	.section	.AMDGPU.csdata,"",@progbits
; Kernel info:
; codeLenInByte = 684
; TotalNumSgprs: 18
; NumVgprs: 14
; ScratchSize: 0
; MemoryBound: 0
; FloatMode: 240
; IeeeMode: 1
; LDSByteSize: 480 bytes/workgroup (compile time only)
; SGPRBlocks: 0
; VGPRBlocks: 0
; NumSGPRsForWavesPerEU: 18
; NumVGPRsForWavesPerEU: 14
; NamedBarCnt: 0
; Occupancy: 16
; WaveLimiterHint : 1
; COMPUTE_PGM_RSRC2:SCRATCH_EN: 0
; COMPUTE_PGM_RSRC2:USER_SGPR: 2
; COMPUTE_PGM_RSRC2:TRAP_HANDLER: 0
; COMPUTE_PGM_RSRC2:TGID_X_EN: 1
; COMPUTE_PGM_RSRC2:TGID_Y_EN: 0
; COMPUTE_PGM_RSRC2:TGID_Z_EN: 0
; COMPUTE_PGM_RSRC2:TIDIG_COMP_CNT: 0
	.section	.text._ZN9rocsparseL22gebsrmvn_mxn_16_kernelILj60ELj15ELj2EdEEvi20rocsparse_direction_NS_24const_host_device_scalarIT2_EEPKiS6_PKS3_iiS8_S4_PS3_21rocsparse_index_base_b,"axG",@progbits,_ZN9rocsparseL22gebsrmvn_mxn_16_kernelILj60ELj15ELj2EdEEvi20rocsparse_direction_NS_24const_host_device_scalarIT2_EEPKiS6_PKS3_iiS8_S4_PS3_21rocsparse_index_base_b,comdat
	.globl	_ZN9rocsparseL22gebsrmvn_mxn_16_kernelILj60ELj15ELj2EdEEvi20rocsparse_direction_NS_24const_host_device_scalarIT2_EEPKiS6_PKS3_iiS8_S4_PS3_21rocsparse_index_base_b ; -- Begin function _ZN9rocsparseL22gebsrmvn_mxn_16_kernelILj60ELj15ELj2EdEEvi20rocsparse_direction_NS_24const_host_device_scalarIT2_EEPKiS6_PKS3_iiS8_S4_PS3_21rocsparse_index_base_b
	.p2align	8
	.type	_ZN9rocsparseL22gebsrmvn_mxn_16_kernelILj60ELj15ELj2EdEEvi20rocsparse_direction_NS_24const_host_device_scalarIT2_EEPKiS6_PKS3_iiS8_S4_PS3_21rocsparse_index_base_b,@function
_ZN9rocsparseL22gebsrmvn_mxn_16_kernelILj60ELj15ELj2EdEEvi20rocsparse_direction_NS_24const_host_device_scalarIT2_EEPKiS6_PKS3_iiS8_S4_PS3_21rocsparse_index_base_b: ; @_ZN9rocsparseL22gebsrmvn_mxn_16_kernelILj60ELj15ELj2EdEEvi20rocsparse_direction_NS_24const_host_device_scalarIT2_EEPKiS6_PKS3_iiS8_S4_PS3_21rocsparse_index_base_b
; %bb.0:
	s_clause 0x2
	s_load_b64 s[10:11], s[0:1], 0x48
	s_load_b64 s[4:5], s[0:1], 0x8
	;; [unrolled: 1-line block ×3, first 2 shown]
	s_wait_kmcnt 0x0
	s_bitcmp1_b32 s11, 0
	v_mov_b64_e32 v[4:5], s[4:5]
	s_cselect_b32 s6, -1, 0
	s_delay_alu instid0(SALU_CYCLE_1)
	s_and_b32 vcc_lo, exec_lo, s6
	s_xor_b32 s6, s6, -1
	s_cbranch_vccnz .LBB53_2
; %bb.1:
	v_mov_b32_e32 v1, 0
	flat_load_b64 v[4:5], v1, s[4:5]
.LBB53_2:
	v_mov_b64_e32 v[2:3], s[2:3]
	s_and_not1_b32 vcc_lo, exec_lo, s6
	s_cbranch_vccnz .LBB53_4
; %bb.3:
	s_wait_xcnt 0x0
	v_mov_b32_e32 v1, 0
	flat_load_b64 v[2:3], v1, s[2:3]
.LBB53_4:
	s_wait_loadcnt_dscnt 0x0
	v_cmp_neq_f64_e32 vcc_lo, 0, v[4:5]
	s_delay_alu instid0(VALU_DEP_2) | instskip(SKIP_1) | instid1(SALU_CYCLE_1)
	v_cmp_neq_f64_e64 s2, 1.0, v[2:3]
	s_or_b32 s2, vcc_lo, s2
	s_and_saveexec_b32 s3, s2
	s_cbranch_execz .LBB53_31
; %bb.5:
	s_clause 0x1
	s_load_b32 s4, s[0:1], 0x4
	s_load_b64 s[2:3], s[0:1], 0x10
	v_and_b32_e32 v1, 1, v0
	s_delay_alu instid0(VALU_DEP_1) | instskip(SKIP_3) | instid1(SALU_CYCLE_1)
	v_mov_b32_e32 v8, v1
	s_wait_kmcnt 0x0
	s_cmp_lg_u32 s4, 1
	s_cselect_b32 s11, -1, 0
	s_and_b32 vcc_lo, exec_lo, s11
	s_cbranch_vccnz .LBB53_7
; %bb.6:
	v_mul_u32_u24_e32 v6, 0x1112, v0
	s_delay_alu instid0(VALU_DEP_1)
	v_bfe_u32 v8, v6, 16, 1
.LBB53_7:
	s_bfe_u32 s4, ttmp6, 0x4000c
	s_and_b32 s5, ttmp6, 15
	s_add_co_i32 s4, s4, 1
	s_getreg_b32 s6, hwreg(HW_REG_IB_STS2, 6, 4)
	s_mul_i32 s4, ttmp9, s4
	v_mov_b64_e32 v[6:7], 0
	s_add_co_i32 s5, s5, s4
	s_cmp_eq_u32 s6, 0
	s_cselect_b32 s8, ttmp9, s5
	s_delay_alu instid0(SALU_CYCLE_1) | instskip(NEXT) | instid1(SALU_CYCLE_1)
	s_ashr_i32 s9, s8, 31
	s_lshl_b64 s[4:5], s[8:9], 2
	s_delay_alu instid0(SALU_CYCLE_1)
	s_add_nc_u64 s[4:5], s[2:3], s[4:5]
	s_load_b64 s[14:15], s[4:5], 0x0
	s_load_b64 s[2:3], s[0:1], 0x40
	s_wait_kmcnt 0x0
	s_cmp_ge_i32 s14, s15
	s_cbranch_scc1 .LBB53_12
; %bb.8:
	s_clause 0x1
	s_load_b128 s[4:7], s[0:1], 0x18
	s_load_b64 s[12:13], s[0:1], 0x30
	v_mad_u32 v10, s14, 30, v0
	v_mul_u32_u24_e32 v9, 0x889, v0
	s_wait_xcnt 0x0
	s_mul_i32 s0, s10, 30
	v_mov_b64_e32 v[6:7], 0
	s_sub_co_i32 s1, s14, s10
	v_lshrrev_b32_e32 v9, 16, v9
	s_delay_alu instid0(VALU_DEP_4)
	v_subrev_nc_u32_e32 v10, s0, v10
	s_sub_co_i32 s0, s15, s10
	s_branch .LBB53_10
.LBB53_9:                               ;   in Loop: Header=BB53_10 Depth=1
	s_or_b32 exec_lo, exec_lo, s9
	v_add_nc_u32_e32 v10, 60, v10
	s_add_co_i32 s1, s1, 2
	s_delay_alu instid0(SALU_CYCLE_1)
	s_cmp_ge_i32 s1, s0
	s_cbranch_scc1 .LBB53_12
.LBB53_10:                              ; =>This Inner Loop Header: Depth=1
	s_delay_alu instid0(VALU_DEP_2) | instskip(SKIP_1) | instid1(VALU_DEP_1)
	v_add_nc_u32_e32 v11, s1, v9
	s_mov_b32 s9, exec_lo
	v_cmpx_gt_i32_e64 s0, v11
	s_cbranch_execz .LBB53_9
; %bb.11:                               ;   in Loop: Header=BB53_10 Depth=1
	s_wait_kmcnt 0x0
	global_load_b32 v11, v11, s[4:5] scale_offset
	s_wait_loadcnt 0x0
	v_subrev_nc_u32_e32 v11, s10, v11
	s_delay_alu instid0(VALU_DEP_1)
	v_lshl_or_b32 v11, v11, 1, v8
	global_load_b64 v[12:13], v10, s[6:7] scale_offset
	global_load_b64 v[14:15], v11, s[12:13] scale_offset
	s_wait_loadcnt 0x0
	v_fmac_f64_e32 v[6:7], v[12:13], v[14:15]
	s_branch .LBB53_9
.LBB53_12:
	v_lshlrev_b32_e32 v10, 3, v0
	s_mov_b32 s0, exec_lo
	ds_store_b64 v10, v[6:7]
	s_wait_dscnt 0x0
	s_barrier_signal -1
	s_barrier_wait -1
	v_cmpx_gt_u32_e32 30, v0
	s_cbranch_execz .LBB53_14
; %bb.13:
	ds_load_2addr_b64 v[12:15], v10 offset1:30
	s_wait_dscnt 0x0
	v_add_f64_e32 v[8:9], v[14:15], v[12:13]
	ds_store_b64 v10, v[8:9]
.LBB53_14:
	s_or_b32 exec_lo, exec_lo, s0
	s_delay_alu instid0(SALU_CYCLE_1)
	s_and_b32 vcc_lo, exec_lo, s11
	s_wait_dscnt 0x0
	s_barrier_signal -1
	s_barrier_wait -1
	s_cbranch_vccz .LBB53_20
; %bb.15:
	s_mov_b32 s0, exec_lo
	v_cmpx_eq_u32_e32 0, v1
	s_cbranch_execz .LBB53_17
; %bb.16:
	ds_load_2addr_b64 v[12:15], v10 offset1:1
	s_wait_dscnt 0x0
	v_add_f64_e32 v[8:9], v[14:15], v[12:13]
	ds_store_b64 v10, v[8:9]
.LBB53_17:
	s_or_b32 exec_lo, exec_lo, s0
	v_mov_b64_e32 v[8:9], v[6:7]
	s_mov_b32 s0, exec_lo
	s_wait_dscnt 0x0
	s_barrier_signal -1
	s_barrier_wait -1
	v_cmpx_gt_u32_e32 15, v0
; %bb.18:
	v_lshl_add_u32 v1, v0, 3, v10
	ds_load_b64 v[8:9], v1
; %bb.19:
	s_or_b32 exec_lo, exec_lo, s0
	s_branch .LBB53_26
.LBB53_20:
                                        ; implicit-def: $vgpr8_vgpr9
	s_cbranch_execz .LBB53_26
; %bb.21:
	s_mov_b32 s0, exec_lo
	v_cmpx_lt_u32_e32 14, v0
	s_xor_b32 s0, exec_lo, s0
	s_cbranch_execz .LBB53_23
; %bb.22:
	s_wait_dscnt 0x0
                                        ; implicit-def: $vgpr10
.LBB53_23:
	s_and_not1_saveexec_b32 s0, s0
	s_cbranch_execz .LBB53_25
; %bb.24:
	s_wait_dscnt 0x0
	ds_load_2addr_b64 v[6:9], v10 offset1:15
	s_wait_dscnt 0x0
	v_add_f64_e32 v[6:7], v[8:9], v[6:7]
	ds_store_b64 v10, v[6:7]
	s_wait_dscnt 0x0
	ds_load_b64 v[6:7], v10
.LBB53_25:
	s_or_b32 exec_lo, exec_lo, s0
	s_wait_dscnt 0x0
	v_mov_b64_e32 v[8:9], v[6:7]
.LBB53_26:
	v_cmp_gt_u32_e32 vcc_lo, 15, v0
	s_and_b32 exec_lo, exec_lo, vcc_lo
	s_cbranch_execz .LBB53_31
; %bb.27:
	s_wait_dscnt 0x0
	s_delay_alu instid0(VALU_DEP_2)
	v_mul_f64_e32 v[4:5], v[4:5], v[8:9]
	v_mad_u32 v0, s8, 15, v0
	s_mov_b32 s0, exec_lo
	v_cmpx_eq_f64_e32 0, v[2:3]
	s_xor_b32 s0, exec_lo, s0
	s_cbranch_execz .LBB53_29
; %bb.28:
	global_store_b64 v0, v[4:5], s[2:3] scale_offset
                                        ; implicit-def: $vgpr0
                                        ; implicit-def: $vgpr2_vgpr3
                                        ; implicit-def: $vgpr4_vgpr5
.LBB53_29:
	s_wait_xcnt 0x0
	s_and_not1_saveexec_b32 s0, s0
	s_cbranch_execz .LBB53_31
; %bb.30:
	global_load_b64 v[6:7], v0, s[2:3] scale_offset
	s_wait_loadcnt 0x0
	v_fmac_f64_e32 v[4:5], v[2:3], v[6:7]
	global_store_b64 v0, v[4:5], s[2:3] scale_offset
.LBB53_31:
	s_endpgm
	.section	.rodata,"a",@progbits
	.p2align	6, 0x0
	.amdhsa_kernel _ZN9rocsparseL22gebsrmvn_mxn_16_kernelILj60ELj15ELj2EdEEvi20rocsparse_direction_NS_24const_host_device_scalarIT2_EEPKiS6_PKS3_iiS8_S4_PS3_21rocsparse_index_base_b
		.amdhsa_group_segment_fixed_size 480
		.amdhsa_private_segment_fixed_size 0
		.amdhsa_kernarg_size 80
		.amdhsa_user_sgpr_count 2
		.amdhsa_user_sgpr_dispatch_ptr 0
		.amdhsa_user_sgpr_queue_ptr 0
		.amdhsa_user_sgpr_kernarg_segment_ptr 1
		.amdhsa_user_sgpr_dispatch_id 0
		.amdhsa_user_sgpr_kernarg_preload_length 0
		.amdhsa_user_sgpr_kernarg_preload_offset 0
		.amdhsa_user_sgpr_private_segment_size 0
		.amdhsa_wavefront_size32 1
		.amdhsa_uses_dynamic_stack 0
		.amdhsa_enable_private_segment 0
		.amdhsa_system_sgpr_workgroup_id_x 1
		.amdhsa_system_sgpr_workgroup_id_y 0
		.amdhsa_system_sgpr_workgroup_id_z 0
		.amdhsa_system_sgpr_workgroup_info 0
		.amdhsa_system_vgpr_workitem_id 0
		.amdhsa_next_free_vgpr 16
		.amdhsa_next_free_sgpr 16
		.amdhsa_named_barrier_count 0
		.amdhsa_reserve_vcc 1
		.amdhsa_float_round_mode_32 0
		.amdhsa_float_round_mode_16_64 0
		.amdhsa_float_denorm_mode_32 3
		.amdhsa_float_denorm_mode_16_64 3
		.amdhsa_fp16_overflow 0
		.amdhsa_memory_ordered 1
		.amdhsa_forward_progress 1
		.amdhsa_inst_pref_size 7
		.amdhsa_round_robin_scheduling 0
		.amdhsa_exception_fp_ieee_invalid_op 0
		.amdhsa_exception_fp_denorm_src 0
		.amdhsa_exception_fp_ieee_div_zero 0
		.amdhsa_exception_fp_ieee_overflow 0
		.amdhsa_exception_fp_ieee_underflow 0
		.amdhsa_exception_fp_ieee_inexact 0
		.amdhsa_exception_int_div_zero 0
	.end_amdhsa_kernel
	.section	.text._ZN9rocsparseL22gebsrmvn_mxn_16_kernelILj60ELj15ELj2EdEEvi20rocsparse_direction_NS_24const_host_device_scalarIT2_EEPKiS6_PKS3_iiS8_S4_PS3_21rocsparse_index_base_b,"axG",@progbits,_ZN9rocsparseL22gebsrmvn_mxn_16_kernelILj60ELj15ELj2EdEEvi20rocsparse_direction_NS_24const_host_device_scalarIT2_EEPKiS6_PKS3_iiS8_S4_PS3_21rocsparse_index_base_b,comdat
.Lfunc_end53:
	.size	_ZN9rocsparseL22gebsrmvn_mxn_16_kernelILj60ELj15ELj2EdEEvi20rocsparse_direction_NS_24const_host_device_scalarIT2_EEPKiS6_PKS3_iiS8_S4_PS3_21rocsparse_index_base_b, .Lfunc_end53-_ZN9rocsparseL22gebsrmvn_mxn_16_kernelILj60ELj15ELj2EdEEvi20rocsparse_direction_NS_24const_host_device_scalarIT2_EEPKiS6_PKS3_iiS8_S4_PS3_21rocsparse_index_base_b
                                        ; -- End function
	.set _ZN9rocsparseL22gebsrmvn_mxn_16_kernelILj60ELj15ELj2EdEEvi20rocsparse_direction_NS_24const_host_device_scalarIT2_EEPKiS6_PKS3_iiS8_S4_PS3_21rocsparse_index_base_b.num_vgpr, 16
	.set _ZN9rocsparseL22gebsrmvn_mxn_16_kernelILj60ELj15ELj2EdEEvi20rocsparse_direction_NS_24const_host_device_scalarIT2_EEPKiS6_PKS3_iiS8_S4_PS3_21rocsparse_index_base_b.num_agpr, 0
	.set _ZN9rocsparseL22gebsrmvn_mxn_16_kernelILj60ELj15ELj2EdEEvi20rocsparse_direction_NS_24const_host_device_scalarIT2_EEPKiS6_PKS3_iiS8_S4_PS3_21rocsparse_index_base_b.numbered_sgpr, 16
	.set _ZN9rocsparseL22gebsrmvn_mxn_16_kernelILj60ELj15ELj2EdEEvi20rocsparse_direction_NS_24const_host_device_scalarIT2_EEPKiS6_PKS3_iiS8_S4_PS3_21rocsparse_index_base_b.num_named_barrier, 0
	.set _ZN9rocsparseL22gebsrmvn_mxn_16_kernelILj60ELj15ELj2EdEEvi20rocsparse_direction_NS_24const_host_device_scalarIT2_EEPKiS6_PKS3_iiS8_S4_PS3_21rocsparse_index_base_b.private_seg_size, 0
	.set _ZN9rocsparseL22gebsrmvn_mxn_16_kernelILj60ELj15ELj2EdEEvi20rocsparse_direction_NS_24const_host_device_scalarIT2_EEPKiS6_PKS3_iiS8_S4_PS3_21rocsparse_index_base_b.uses_vcc, 1
	.set _ZN9rocsparseL22gebsrmvn_mxn_16_kernelILj60ELj15ELj2EdEEvi20rocsparse_direction_NS_24const_host_device_scalarIT2_EEPKiS6_PKS3_iiS8_S4_PS3_21rocsparse_index_base_b.uses_flat_scratch, 0
	.set _ZN9rocsparseL22gebsrmvn_mxn_16_kernelILj60ELj15ELj2EdEEvi20rocsparse_direction_NS_24const_host_device_scalarIT2_EEPKiS6_PKS3_iiS8_S4_PS3_21rocsparse_index_base_b.has_dyn_sized_stack, 0
	.set _ZN9rocsparseL22gebsrmvn_mxn_16_kernelILj60ELj15ELj2EdEEvi20rocsparse_direction_NS_24const_host_device_scalarIT2_EEPKiS6_PKS3_iiS8_S4_PS3_21rocsparse_index_base_b.has_recursion, 0
	.set _ZN9rocsparseL22gebsrmvn_mxn_16_kernelILj60ELj15ELj2EdEEvi20rocsparse_direction_NS_24const_host_device_scalarIT2_EEPKiS6_PKS3_iiS8_S4_PS3_21rocsparse_index_base_b.has_indirect_call, 0
	.section	.AMDGPU.csdata,"",@progbits
; Kernel info:
; codeLenInByte = 860
; TotalNumSgprs: 18
; NumVgprs: 16
; ScratchSize: 0
; MemoryBound: 0
; FloatMode: 240
; IeeeMode: 1
; LDSByteSize: 480 bytes/workgroup (compile time only)
; SGPRBlocks: 0
; VGPRBlocks: 0
; NumSGPRsForWavesPerEU: 18
; NumVGPRsForWavesPerEU: 16
; NamedBarCnt: 0
; Occupancy: 16
; WaveLimiterHint : 1
; COMPUTE_PGM_RSRC2:SCRATCH_EN: 0
; COMPUTE_PGM_RSRC2:USER_SGPR: 2
; COMPUTE_PGM_RSRC2:TRAP_HANDLER: 0
; COMPUTE_PGM_RSRC2:TGID_X_EN: 1
; COMPUTE_PGM_RSRC2:TGID_Y_EN: 0
; COMPUTE_PGM_RSRC2:TGID_Z_EN: 0
; COMPUTE_PGM_RSRC2:TIDIG_COMP_CNT: 0
	.section	.text._ZN9rocsparseL22gebsrmvn_mxn_16_kernelILj45ELj15ELj3EdEEvi20rocsparse_direction_NS_24const_host_device_scalarIT2_EEPKiS6_PKS3_iiS8_S4_PS3_21rocsparse_index_base_b,"axG",@progbits,_ZN9rocsparseL22gebsrmvn_mxn_16_kernelILj45ELj15ELj3EdEEvi20rocsparse_direction_NS_24const_host_device_scalarIT2_EEPKiS6_PKS3_iiS8_S4_PS3_21rocsparse_index_base_b,comdat
	.globl	_ZN9rocsparseL22gebsrmvn_mxn_16_kernelILj45ELj15ELj3EdEEvi20rocsparse_direction_NS_24const_host_device_scalarIT2_EEPKiS6_PKS3_iiS8_S4_PS3_21rocsparse_index_base_b ; -- Begin function _ZN9rocsparseL22gebsrmvn_mxn_16_kernelILj45ELj15ELj3EdEEvi20rocsparse_direction_NS_24const_host_device_scalarIT2_EEPKiS6_PKS3_iiS8_S4_PS3_21rocsparse_index_base_b
	.p2align	8
	.type	_ZN9rocsparseL22gebsrmvn_mxn_16_kernelILj45ELj15ELj3EdEEvi20rocsparse_direction_NS_24const_host_device_scalarIT2_EEPKiS6_PKS3_iiS8_S4_PS3_21rocsparse_index_base_b,@function
_ZN9rocsparseL22gebsrmvn_mxn_16_kernelILj45ELj15ELj3EdEEvi20rocsparse_direction_NS_24const_host_device_scalarIT2_EEPKiS6_PKS3_iiS8_S4_PS3_21rocsparse_index_base_b: ; @_ZN9rocsparseL22gebsrmvn_mxn_16_kernelILj45ELj15ELj3EdEEvi20rocsparse_direction_NS_24const_host_device_scalarIT2_EEPKiS6_PKS3_iiS8_S4_PS3_21rocsparse_index_base_b
; %bb.0:
	s_clause 0x2
	s_load_b64 s[10:11], s[0:1], 0x48
	s_load_b64 s[4:5], s[0:1], 0x8
	;; [unrolled: 1-line block ×3, first 2 shown]
	s_wait_kmcnt 0x0
	s_bitcmp1_b32 s11, 0
	v_mov_b64_e32 v[4:5], s[4:5]
	s_cselect_b32 s6, -1, 0
	s_delay_alu instid0(SALU_CYCLE_1)
	s_and_b32 vcc_lo, exec_lo, s6
	s_xor_b32 s6, s6, -1
	s_cbranch_vccnz .LBB54_2
; %bb.1:
	v_mov_b32_e32 v1, 0
	flat_load_b64 v[4:5], v1, s[4:5]
.LBB54_2:
	v_mov_b64_e32 v[2:3], s[2:3]
	s_and_not1_b32 vcc_lo, exec_lo, s6
	s_cbranch_vccnz .LBB54_4
; %bb.3:
	s_wait_xcnt 0x0
	v_mov_b32_e32 v1, 0
	flat_load_b64 v[2:3], v1, s[2:3]
.LBB54_4:
	s_wait_loadcnt_dscnt 0x0
	v_cmp_neq_f64_e32 vcc_lo, 0, v[4:5]
	s_delay_alu instid0(VALU_DEP_2) | instskip(SKIP_1) | instid1(SALU_CYCLE_1)
	v_cmp_neq_f64_e64 s2, 1.0, v[2:3]
	s_or_b32 s2, vcc_lo, s2
	s_and_saveexec_b32 s3, s2
	s_cbranch_execz .LBB54_33
; %bb.5:
	v_mul_u32_u24_e32 v1, 0x5556, v0
	s_clause 0x1
	s_load_b32 s4, s[0:1], 0x4
	s_load_b64 s[2:3], s[0:1], 0x10
	v_and_b32_e32 v9, 0xffff, v0
	v_lshrrev_b32_e32 v1, 16, v1
	s_delay_alu instid0(VALU_DEP_1) | instskip(NEXT) | instid1(VALU_DEP_1)
	v_mul_lo_u16 v1, v1, 3
	v_sub_nc_u16 v1, v0, v1
	s_delay_alu instid0(VALU_DEP_1) | instskip(SKIP_3) | instid1(SALU_CYCLE_1)
	v_and_b32_e32 v8, 0xffff, v1
	s_wait_kmcnt 0x0
	s_cmp_lg_u32 s4, 1
	s_cselect_b32 s11, -1, 0
	s_and_b32 vcc_lo, exec_lo, s11
	v_mov_b32_e32 v1, v8
	s_cbranch_vccnz .LBB54_7
; %bb.6:
	v_mul_u32_u24_e32 v1, 0x1112, v9
	s_delay_alu instid0(VALU_DEP_1) | instskip(NEXT) | instid1(VALU_DEP_1)
	v_lshrrev_b32_e32 v1, 16, v1
	v_mul_lo_u16 v6, 0x56, v1
	s_delay_alu instid0(VALU_DEP_1) | instskip(NEXT) | instid1(VALU_DEP_1)
	v_lshrrev_b16 v6, 8, v6
	v_mul_lo_u16 v6, v6, 3
	s_delay_alu instid0(VALU_DEP_1) | instskip(NEXT) | instid1(VALU_DEP_1)
	v_sub_nc_u16 v1, v1, v6
	v_and_b32_e32 v1, 0xff, v1
.LBB54_7:
	s_bfe_u32 s4, ttmp6, 0x4000c
	s_and_b32 s5, ttmp6, 15
	s_add_co_i32 s4, s4, 1
	s_getreg_b32 s6, hwreg(HW_REG_IB_STS2, 6, 4)
	s_mul_i32 s4, ttmp9, s4
	v_mov_b64_e32 v[6:7], 0
	s_add_co_i32 s5, s5, s4
	s_cmp_eq_u32 s6, 0
	s_cselect_b32 s8, ttmp9, s5
	s_delay_alu instid0(SALU_CYCLE_1) | instskip(NEXT) | instid1(SALU_CYCLE_1)
	s_ashr_i32 s9, s8, 31
	s_lshl_b64 s[4:5], s[8:9], 2
	s_delay_alu instid0(SALU_CYCLE_1)
	s_add_nc_u64 s[4:5], s[2:3], s[4:5]
	s_load_b64 s[14:15], s[4:5], 0x0
	s_load_b64 s[2:3], s[0:1], 0x40
	s_wait_kmcnt 0x0
	s_cmp_ge_i32 s14, s15
	s_cbranch_scc1 .LBB54_12
; %bb.8:
	s_clause 0x1
	s_load_b128 s[4:7], s[0:1], 0x18
	s_load_b64 s[12:13], s[0:1], 0x30
	v_mad_u32 v10, s14, 45, v0
	v_mul_u32_u24_e32 v9, 0x5b1, v9
	s_wait_xcnt 0x0
	s_mul_i32 s0, s10, 45
	v_mov_b64_e32 v[6:7], 0
	s_sub_co_i32 s1, s14, s10
	v_lshrrev_b32_e32 v9, 16, v9
	s_delay_alu instid0(VALU_DEP_4)
	v_subrev_nc_u32_e32 v10, s0, v10
	s_sub_co_i32 s0, s15, s10
	s_branch .LBB54_10
.LBB54_9:                               ;   in Loop: Header=BB54_10 Depth=1
	s_or_b32 exec_lo, exec_lo, s9
	v_add_nc_u32_e32 v10, 45, v10
	s_add_co_i32 s1, s1, 1
	s_delay_alu instid0(SALU_CYCLE_1)
	s_cmp_ge_i32 s1, s0
	s_cbranch_scc1 .LBB54_12
.LBB54_10:                              ; =>This Inner Loop Header: Depth=1
	s_delay_alu instid0(VALU_DEP_2) | instskip(SKIP_1) | instid1(VALU_DEP_1)
	v_add_nc_u32_e32 v11, s1, v9
	s_mov_b32 s9, exec_lo
	v_cmpx_gt_i32_e64 s0, v11
	s_cbranch_execz .LBB54_9
; %bb.11:                               ;   in Loop: Header=BB54_10 Depth=1
	s_wait_kmcnt 0x0
	global_load_b32 v11, v11, s[4:5] scale_offset
	s_wait_loadcnt 0x0
	v_subrev_nc_u32_e32 v11, s10, v11
	s_delay_alu instid0(VALU_DEP_1)
	v_mad_u32 v11, v11, 3, v1
	global_load_b64 v[12:13], v10, s[6:7] scale_offset
	global_load_b64 v[14:15], v11, s[12:13] scale_offset
	s_wait_loadcnt 0x0
	v_fmac_f64_e32 v[6:7], v[12:13], v[14:15]
	s_branch .LBB54_9
.LBB54_12:
	v_lshlrev_b32_e32 v1, 3, v0
	s_and_b32 vcc_lo, exec_lo, s11
	ds_store_b64 v1, v[6:7]
	s_wait_dscnt 0x0
	s_barrier_signal -1
	s_barrier_wait -1
	s_cbranch_vccz .LBB54_20
; %bb.13:
	v_cmp_eq_u16_e32 vcc_lo, 0, v8
	s_and_saveexec_b32 s0, vcc_lo
	s_cbranch_execz .LBB54_15
; %bb.14:
	ds_load_2addr_b64 v[8:11], v1 offset1:2
	s_wait_dscnt 0x0
	v_add_f64_e32 v[8:9], v[10:11], v[8:9]
	ds_store_b64 v1, v[8:9]
.LBB54_15:
	s_or_b32 exec_lo, exec_lo, s0
	s_wait_dscnt 0x0
	s_barrier_signal -1
	s_barrier_wait -1
	s_and_saveexec_b32 s0, vcc_lo
	s_cbranch_execz .LBB54_17
; %bb.16:
	ds_load_2addr_b64 v[8:11], v1 offset1:1
	s_wait_dscnt 0x0
	v_add_f64_e32 v[8:9], v[10:11], v[8:9]
	ds_store_b64 v1, v[8:9]
.LBB54_17:
	s_or_b32 exec_lo, exec_lo, s0
	v_mov_b64_e32 v[8:9], v[6:7]
	s_mov_b32 s0, exec_lo
	s_wait_dscnt 0x0
	s_barrier_signal -1
	s_barrier_wait -1
	v_cmpx_gt_u32_e32 15, v0
; %bb.18:
	v_lshl_add_u32 v8, v0, 4, v1
	ds_load_b64 v[8:9], v8
; %bb.19:
	s_or_b32 exec_lo, exec_lo, s0
	v_cmp_gt_u32_e64 s0, 15, v0
	s_branch .LBB54_28
.LBB54_20:
                                        ; implicit-def: $vgpr8_vgpr9
	v_cmp_gt_u32_e64 s0, 15, v0
	s_cbranch_execz .LBB54_28
; %bb.21:
	v_cmp_lt_u32_e32 vcc_lo, 14, v0
	s_and_saveexec_b32 s1, s0
	s_cbranch_execz .LBB54_23
; %bb.22:
	s_wait_dscnt 0x0
	ds_load_2addr_b64 v[8:11], v1 offset1:30
	s_wait_dscnt 0x0
	v_add_f64_e32 v[8:9], v[10:11], v[8:9]
	ds_store_b64 v1, v[8:9]
.LBB54_23:
	s_or_b32 exec_lo, exec_lo, s1
	s_wait_dscnt 0x0
	s_barrier_signal -1
	s_barrier_wait -1
	s_and_saveexec_b32 s0, vcc_lo
	s_delay_alu instid0(SALU_CYCLE_1)
	s_xor_b32 s0, exec_lo, s0
; %bb.24:
                                        ; implicit-def: $vgpr1
; %bb.25:
	s_delay_alu instid0(SALU_CYCLE_1)
	s_and_not1_saveexec_b32 s0, s0
	s_cbranch_execz .LBB54_27
; %bb.26:
	ds_load_2addr_b64 v[6:9], v1 offset1:15
	s_wait_dscnt 0x0
	v_add_f64_e32 v[6:7], v[8:9], v[6:7]
	ds_store_b64 v1, v[6:7]
	s_wait_dscnt 0x0
	ds_load_b64 v[6:7], v1
.LBB54_27:
	s_or_b32 exec_lo, exec_lo, s0
	s_wait_dscnt 0x0
	v_mov_b64_e32 v[8:9], v[6:7]
.LBB54_28:
	v_cmp_gt_u32_e32 vcc_lo, 15, v0
	s_and_b32 exec_lo, exec_lo, vcc_lo
	s_cbranch_execz .LBB54_33
; %bb.29:
	s_wait_dscnt 0x0
	s_delay_alu instid0(VALU_DEP_2)
	v_mul_f64_e32 v[4:5], v[4:5], v[8:9]
	v_mad_u32 v0, s8, 15, v0
	s_mov_b32 s0, exec_lo
	v_cmpx_eq_f64_e32 0, v[2:3]
	s_xor_b32 s0, exec_lo, s0
	s_cbranch_execz .LBB54_31
; %bb.30:
	global_store_b64 v0, v[4:5], s[2:3] scale_offset
                                        ; implicit-def: $vgpr0
                                        ; implicit-def: $vgpr2_vgpr3
                                        ; implicit-def: $vgpr4_vgpr5
.LBB54_31:
	s_wait_xcnt 0x0
	s_and_not1_saveexec_b32 s0, s0
	s_cbranch_execz .LBB54_33
; %bb.32:
	global_load_b64 v[6:7], v0, s[2:3] scale_offset
	s_wait_loadcnt 0x0
	v_fmac_f64_e32 v[4:5], v[2:3], v[6:7]
	global_store_b64 v0, v[4:5], s[2:3] scale_offset
.LBB54_33:
	s_endpgm
	.section	.rodata,"a",@progbits
	.p2align	6, 0x0
	.amdhsa_kernel _ZN9rocsparseL22gebsrmvn_mxn_16_kernelILj45ELj15ELj3EdEEvi20rocsparse_direction_NS_24const_host_device_scalarIT2_EEPKiS6_PKS3_iiS8_S4_PS3_21rocsparse_index_base_b
		.amdhsa_group_segment_fixed_size 360
		.amdhsa_private_segment_fixed_size 0
		.amdhsa_kernarg_size 80
		.amdhsa_user_sgpr_count 2
		.amdhsa_user_sgpr_dispatch_ptr 0
		.amdhsa_user_sgpr_queue_ptr 0
		.amdhsa_user_sgpr_kernarg_segment_ptr 1
		.amdhsa_user_sgpr_dispatch_id 0
		.amdhsa_user_sgpr_kernarg_preload_length 0
		.amdhsa_user_sgpr_kernarg_preload_offset 0
		.amdhsa_user_sgpr_private_segment_size 0
		.amdhsa_wavefront_size32 1
		.amdhsa_uses_dynamic_stack 0
		.amdhsa_enable_private_segment 0
		.amdhsa_system_sgpr_workgroup_id_x 1
		.amdhsa_system_sgpr_workgroup_id_y 0
		.amdhsa_system_sgpr_workgroup_id_z 0
		.amdhsa_system_sgpr_workgroup_info 0
		.amdhsa_system_vgpr_workitem_id 0
		.amdhsa_next_free_vgpr 16
		.amdhsa_next_free_sgpr 16
		.amdhsa_named_barrier_count 0
		.amdhsa_reserve_vcc 1
		.amdhsa_float_round_mode_32 0
		.amdhsa_float_round_mode_16_64 0
		.amdhsa_float_denorm_mode_32 3
		.amdhsa_float_denorm_mode_16_64 3
		.amdhsa_fp16_overflow 0
		.amdhsa_memory_ordered 1
		.amdhsa_forward_progress 1
		.amdhsa_inst_pref_size 8
		.amdhsa_round_robin_scheduling 0
		.amdhsa_exception_fp_ieee_invalid_op 0
		.amdhsa_exception_fp_denorm_src 0
		.amdhsa_exception_fp_ieee_div_zero 0
		.amdhsa_exception_fp_ieee_overflow 0
		.amdhsa_exception_fp_ieee_underflow 0
		.amdhsa_exception_fp_ieee_inexact 0
		.amdhsa_exception_int_div_zero 0
	.end_amdhsa_kernel
	.section	.text._ZN9rocsparseL22gebsrmvn_mxn_16_kernelILj45ELj15ELj3EdEEvi20rocsparse_direction_NS_24const_host_device_scalarIT2_EEPKiS6_PKS3_iiS8_S4_PS3_21rocsparse_index_base_b,"axG",@progbits,_ZN9rocsparseL22gebsrmvn_mxn_16_kernelILj45ELj15ELj3EdEEvi20rocsparse_direction_NS_24const_host_device_scalarIT2_EEPKiS6_PKS3_iiS8_S4_PS3_21rocsparse_index_base_b,comdat
.Lfunc_end54:
	.size	_ZN9rocsparseL22gebsrmvn_mxn_16_kernelILj45ELj15ELj3EdEEvi20rocsparse_direction_NS_24const_host_device_scalarIT2_EEPKiS6_PKS3_iiS8_S4_PS3_21rocsparse_index_base_b, .Lfunc_end54-_ZN9rocsparseL22gebsrmvn_mxn_16_kernelILj45ELj15ELj3EdEEvi20rocsparse_direction_NS_24const_host_device_scalarIT2_EEPKiS6_PKS3_iiS8_S4_PS3_21rocsparse_index_base_b
                                        ; -- End function
	.set _ZN9rocsparseL22gebsrmvn_mxn_16_kernelILj45ELj15ELj3EdEEvi20rocsparse_direction_NS_24const_host_device_scalarIT2_EEPKiS6_PKS3_iiS8_S4_PS3_21rocsparse_index_base_b.num_vgpr, 16
	.set _ZN9rocsparseL22gebsrmvn_mxn_16_kernelILj45ELj15ELj3EdEEvi20rocsparse_direction_NS_24const_host_device_scalarIT2_EEPKiS6_PKS3_iiS8_S4_PS3_21rocsparse_index_base_b.num_agpr, 0
	.set _ZN9rocsparseL22gebsrmvn_mxn_16_kernelILj45ELj15ELj3EdEEvi20rocsparse_direction_NS_24const_host_device_scalarIT2_EEPKiS6_PKS3_iiS8_S4_PS3_21rocsparse_index_base_b.numbered_sgpr, 16
	.set _ZN9rocsparseL22gebsrmvn_mxn_16_kernelILj45ELj15ELj3EdEEvi20rocsparse_direction_NS_24const_host_device_scalarIT2_EEPKiS6_PKS3_iiS8_S4_PS3_21rocsparse_index_base_b.num_named_barrier, 0
	.set _ZN9rocsparseL22gebsrmvn_mxn_16_kernelILj45ELj15ELj3EdEEvi20rocsparse_direction_NS_24const_host_device_scalarIT2_EEPKiS6_PKS3_iiS8_S4_PS3_21rocsparse_index_base_b.private_seg_size, 0
	.set _ZN9rocsparseL22gebsrmvn_mxn_16_kernelILj45ELj15ELj3EdEEvi20rocsparse_direction_NS_24const_host_device_scalarIT2_EEPKiS6_PKS3_iiS8_S4_PS3_21rocsparse_index_base_b.uses_vcc, 1
	.set _ZN9rocsparseL22gebsrmvn_mxn_16_kernelILj45ELj15ELj3EdEEvi20rocsparse_direction_NS_24const_host_device_scalarIT2_EEPKiS6_PKS3_iiS8_S4_PS3_21rocsparse_index_base_b.uses_flat_scratch, 0
	.set _ZN9rocsparseL22gebsrmvn_mxn_16_kernelILj45ELj15ELj3EdEEvi20rocsparse_direction_NS_24const_host_device_scalarIT2_EEPKiS6_PKS3_iiS8_S4_PS3_21rocsparse_index_base_b.has_dyn_sized_stack, 0
	.set _ZN9rocsparseL22gebsrmvn_mxn_16_kernelILj45ELj15ELj3EdEEvi20rocsparse_direction_NS_24const_host_device_scalarIT2_EEPKiS6_PKS3_iiS8_S4_PS3_21rocsparse_index_base_b.has_recursion, 0
	.set _ZN9rocsparseL22gebsrmvn_mxn_16_kernelILj45ELj15ELj3EdEEvi20rocsparse_direction_NS_24const_host_device_scalarIT2_EEPKiS6_PKS3_iiS8_S4_PS3_21rocsparse_index_base_b.has_indirect_call, 0
	.section	.AMDGPU.csdata,"",@progbits
; Kernel info:
; codeLenInByte = 1008
; TotalNumSgprs: 18
; NumVgprs: 16
; ScratchSize: 0
; MemoryBound: 0
; FloatMode: 240
; IeeeMode: 1
; LDSByteSize: 360 bytes/workgroup (compile time only)
; SGPRBlocks: 0
; VGPRBlocks: 0
; NumSGPRsForWavesPerEU: 18
; NumVGPRsForWavesPerEU: 16
; NamedBarCnt: 0
; Occupancy: 16
; WaveLimiterHint : 1
; COMPUTE_PGM_RSRC2:SCRATCH_EN: 0
; COMPUTE_PGM_RSRC2:USER_SGPR: 2
; COMPUTE_PGM_RSRC2:TRAP_HANDLER: 0
; COMPUTE_PGM_RSRC2:TGID_X_EN: 1
; COMPUTE_PGM_RSRC2:TGID_Y_EN: 0
; COMPUTE_PGM_RSRC2:TGID_Z_EN: 0
; COMPUTE_PGM_RSRC2:TIDIG_COMP_CNT: 0
	.section	.text._ZN9rocsparseL22gebsrmvn_mxn_16_kernelILj60ELj15ELj4EdEEvi20rocsparse_direction_NS_24const_host_device_scalarIT2_EEPKiS6_PKS3_iiS8_S4_PS3_21rocsparse_index_base_b,"axG",@progbits,_ZN9rocsparseL22gebsrmvn_mxn_16_kernelILj60ELj15ELj4EdEEvi20rocsparse_direction_NS_24const_host_device_scalarIT2_EEPKiS6_PKS3_iiS8_S4_PS3_21rocsparse_index_base_b,comdat
	.globl	_ZN9rocsparseL22gebsrmvn_mxn_16_kernelILj60ELj15ELj4EdEEvi20rocsparse_direction_NS_24const_host_device_scalarIT2_EEPKiS6_PKS3_iiS8_S4_PS3_21rocsparse_index_base_b ; -- Begin function _ZN9rocsparseL22gebsrmvn_mxn_16_kernelILj60ELj15ELj4EdEEvi20rocsparse_direction_NS_24const_host_device_scalarIT2_EEPKiS6_PKS3_iiS8_S4_PS3_21rocsparse_index_base_b
	.p2align	8
	.type	_ZN9rocsparseL22gebsrmvn_mxn_16_kernelILj60ELj15ELj4EdEEvi20rocsparse_direction_NS_24const_host_device_scalarIT2_EEPKiS6_PKS3_iiS8_S4_PS3_21rocsparse_index_base_b,@function
_ZN9rocsparseL22gebsrmvn_mxn_16_kernelILj60ELj15ELj4EdEEvi20rocsparse_direction_NS_24const_host_device_scalarIT2_EEPKiS6_PKS3_iiS8_S4_PS3_21rocsparse_index_base_b: ; @_ZN9rocsparseL22gebsrmvn_mxn_16_kernelILj60ELj15ELj4EdEEvi20rocsparse_direction_NS_24const_host_device_scalarIT2_EEPKiS6_PKS3_iiS8_S4_PS3_21rocsparse_index_base_b
; %bb.0:
	s_clause 0x2
	s_load_b64 s[10:11], s[0:1], 0x48
	s_load_b64 s[4:5], s[0:1], 0x8
	;; [unrolled: 1-line block ×3, first 2 shown]
	s_wait_kmcnt 0x0
	s_bitcmp1_b32 s11, 0
	v_mov_b64_e32 v[4:5], s[4:5]
	s_cselect_b32 s6, -1, 0
	s_delay_alu instid0(SALU_CYCLE_1)
	s_and_b32 vcc_lo, exec_lo, s6
	s_xor_b32 s6, s6, -1
	s_cbranch_vccnz .LBB55_2
; %bb.1:
	v_mov_b32_e32 v1, 0
	flat_load_b64 v[4:5], v1, s[4:5]
.LBB55_2:
	v_mov_b64_e32 v[2:3], s[2:3]
	s_and_not1_b32 vcc_lo, exec_lo, s6
	s_cbranch_vccnz .LBB55_4
; %bb.3:
	s_wait_xcnt 0x0
	v_mov_b32_e32 v1, 0
	flat_load_b64 v[2:3], v1, s[2:3]
.LBB55_4:
	s_wait_loadcnt_dscnt 0x0
	v_cmp_neq_f64_e32 vcc_lo, 0, v[4:5]
	s_delay_alu instid0(VALU_DEP_2) | instskip(SKIP_1) | instid1(SALU_CYCLE_1)
	v_cmp_neq_f64_e64 s2, 1.0, v[2:3]
	s_or_b32 s2, vcc_lo, s2
	s_and_saveexec_b32 s3, s2
	s_cbranch_execz .LBB55_33
; %bb.5:
	s_clause 0x1
	s_load_b32 s4, s[0:1], 0x4
	s_load_b64 s[2:3], s[0:1], 0x10
	v_and_b32_e32 v1, 3, v0
	s_delay_alu instid0(VALU_DEP_1) | instskip(SKIP_3) | instid1(SALU_CYCLE_1)
	v_mov_b32_e32 v8, v1
	s_wait_kmcnt 0x0
	s_cmp_lg_u32 s4, 1
	s_cselect_b32 s11, -1, 0
	s_and_b32 vcc_lo, exec_lo, s11
	s_cbranch_vccnz .LBB55_7
; %bb.6:
	v_mul_u32_u24_e32 v6, 0x1112, v0
	s_delay_alu instid0(VALU_DEP_1)
	v_bfe_u32 v8, v6, 16, 2
.LBB55_7:
	s_bfe_u32 s4, ttmp6, 0x4000c
	s_and_b32 s5, ttmp6, 15
	s_add_co_i32 s4, s4, 1
	s_getreg_b32 s6, hwreg(HW_REG_IB_STS2, 6, 4)
	s_mul_i32 s4, ttmp9, s4
	v_mov_b64_e32 v[6:7], 0
	s_add_co_i32 s5, s5, s4
	s_cmp_eq_u32 s6, 0
	s_cselect_b32 s8, ttmp9, s5
	s_delay_alu instid0(SALU_CYCLE_1) | instskip(NEXT) | instid1(SALU_CYCLE_1)
	s_ashr_i32 s9, s8, 31
	s_lshl_b64 s[4:5], s[8:9], 2
	s_delay_alu instid0(SALU_CYCLE_1)
	s_add_nc_u64 s[4:5], s[2:3], s[4:5]
	s_load_b64 s[14:15], s[4:5], 0x0
	s_load_b64 s[2:3], s[0:1], 0x40
	s_wait_kmcnt 0x0
	s_cmp_ge_i32 s14, s15
	s_cbranch_scc1 .LBB55_12
; %bb.8:
	s_clause 0x1
	s_load_b128 s[4:7], s[0:1], 0x18
	s_load_b64 s[12:13], s[0:1], 0x30
	v_mad_u32 v10, s14, 60, v0
	v_mul_u32_u24_e32 v9, 0x445, v0
	s_wait_xcnt 0x0
	s_mul_i32 s0, s10, 60
	v_mov_b64_e32 v[6:7], 0
	s_sub_co_i32 s1, s14, s10
	v_lshrrev_b32_e32 v9, 16, v9
	s_delay_alu instid0(VALU_DEP_4)
	v_subrev_nc_u32_e32 v10, s0, v10
	s_sub_co_i32 s0, s15, s10
	s_branch .LBB55_10
.LBB55_9:                               ;   in Loop: Header=BB55_10 Depth=1
	s_or_b32 exec_lo, exec_lo, s9
	v_add_nc_u32_e32 v10, 60, v10
	s_add_co_i32 s1, s1, 1
	s_delay_alu instid0(SALU_CYCLE_1)
	s_cmp_ge_i32 s1, s0
	s_cbranch_scc1 .LBB55_12
.LBB55_10:                              ; =>This Inner Loop Header: Depth=1
	s_delay_alu instid0(VALU_DEP_2) | instskip(SKIP_1) | instid1(VALU_DEP_1)
	v_add_nc_u32_e32 v11, s1, v9
	s_mov_b32 s9, exec_lo
	v_cmpx_gt_i32_e64 s0, v11
	s_cbranch_execz .LBB55_9
; %bb.11:                               ;   in Loop: Header=BB55_10 Depth=1
	s_wait_kmcnt 0x0
	global_load_b32 v11, v11, s[4:5] scale_offset
	s_wait_loadcnt 0x0
	v_subrev_nc_u32_e32 v11, s10, v11
	s_delay_alu instid0(VALU_DEP_1)
	v_lshl_or_b32 v11, v11, 2, v8
	global_load_b64 v[12:13], v10, s[6:7] scale_offset
	global_load_b64 v[14:15], v11, s[12:13] scale_offset
	s_wait_loadcnt 0x0
	v_fmac_f64_e32 v[6:7], v[12:13], v[14:15]
	s_branch .LBB55_9
.LBB55_12:
	v_lshlrev_b32_e32 v10, 3, v0
	s_and_b32 vcc_lo, exec_lo, s11
	ds_store_b64 v10, v[6:7]
	s_wait_dscnt 0x0
	s_barrier_signal -1
	s_barrier_wait -1
	s_cbranch_vccz .LBB55_20
; %bb.13:
	s_mov_b32 s0, exec_lo
	v_cmpx_gt_u32_e32 2, v1
	s_cbranch_execz .LBB55_15
; %bb.14:
	ds_load_2addr_b64 v[12:15], v10 offset1:2
	s_wait_dscnt 0x0
	v_add_f64_e32 v[8:9], v[14:15], v[12:13]
	ds_store_b64 v10, v[8:9]
.LBB55_15:
	s_or_b32 exec_lo, exec_lo, s0
	s_delay_alu instid0(SALU_CYCLE_1)
	s_mov_b32 s0, exec_lo
	s_wait_dscnt 0x0
	s_barrier_signal -1
	s_barrier_wait -1
	v_cmpx_eq_u32_e32 0, v1
	s_cbranch_execz .LBB55_17
; %bb.16:
	ds_load_2addr_b64 v[12:15], v10 offset1:1
	s_wait_dscnt 0x0
	v_add_f64_e32 v[8:9], v[14:15], v[12:13]
	ds_store_b64 v10, v[8:9]
.LBB55_17:
	s_or_b32 exec_lo, exec_lo, s0
	v_mov_b64_e32 v[8:9], v[6:7]
	s_mov_b32 s0, exec_lo
	s_wait_dscnt 0x0
	s_barrier_signal -1
	s_barrier_wait -1
	v_cmpx_gt_u32_e32 15, v0
; %bb.18:
	v_mad_u32_u24 v1, v0, 24, v10
	ds_load_b64 v[8:9], v1
; %bb.19:
	s_or_b32 exec_lo, exec_lo, s0
	s_branch .LBB55_28
.LBB55_20:
                                        ; implicit-def: $vgpr8_vgpr9
	s_cbranch_execz .LBB55_28
; %bb.21:
	s_mov_b32 s0, exec_lo
	v_cmpx_gt_u32_e32 30, v0
	s_cbranch_execz .LBB55_23
; %bb.22:
	ds_load_2addr_b64 v[12:15], v10 offset1:30
	s_wait_dscnt 0x0
	v_add_f64_e32 v[8:9], v[14:15], v[12:13]
	ds_store_b64 v10, v[8:9]
.LBB55_23:
	s_or_b32 exec_lo, exec_lo, s0
	s_delay_alu instid0(SALU_CYCLE_1)
	s_mov_b32 s0, exec_lo
	s_wait_dscnt 0x0
	v_cmpx_lt_u32_e32 14, v0
	s_xor_b32 s0, exec_lo, s0
; %bb.24:
                                        ; implicit-def: $vgpr10
; %bb.25:
	s_delay_alu instid0(SALU_CYCLE_1)
	s_and_not1_saveexec_b32 s0, s0
	s_cbranch_execz .LBB55_27
; %bb.26:
	ds_load_2addr_b64 v[6:9], v10 offset1:15
	s_wait_dscnt 0x0
	v_add_f64_e32 v[6:7], v[8:9], v[6:7]
	ds_store_b64 v10, v[6:7]
	s_wait_dscnt 0x0
	ds_load_b64 v[6:7], v10
.LBB55_27:
	s_or_b32 exec_lo, exec_lo, s0
	s_wait_dscnt 0x0
	v_mov_b64_e32 v[8:9], v[6:7]
.LBB55_28:
	v_cmp_gt_u32_e32 vcc_lo, 15, v0
	s_and_b32 exec_lo, exec_lo, vcc_lo
	s_cbranch_execz .LBB55_33
; %bb.29:
	s_wait_dscnt 0x0
	s_delay_alu instid0(VALU_DEP_2)
	v_mul_f64_e32 v[4:5], v[4:5], v[8:9]
	v_mad_u32 v0, s8, 15, v0
	s_mov_b32 s0, exec_lo
	v_cmpx_eq_f64_e32 0, v[2:3]
	s_xor_b32 s0, exec_lo, s0
	s_cbranch_execz .LBB55_31
; %bb.30:
	global_store_b64 v0, v[4:5], s[2:3] scale_offset
                                        ; implicit-def: $vgpr0
                                        ; implicit-def: $vgpr2_vgpr3
                                        ; implicit-def: $vgpr4_vgpr5
.LBB55_31:
	s_wait_xcnt 0x0
	s_and_not1_saveexec_b32 s0, s0
	s_cbranch_execz .LBB55_33
; %bb.32:
	global_load_b64 v[6:7], v0, s[2:3] scale_offset
	s_wait_loadcnt 0x0
	v_fmac_f64_e32 v[4:5], v[2:3], v[6:7]
	global_store_b64 v0, v[4:5], s[2:3] scale_offset
.LBB55_33:
	s_endpgm
	.section	.rodata,"a",@progbits
	.p2align	6, 0x0
	.amdhsa_kernel _ZN9rocsparseL22gebsrmvn_mxn_16_kernelILj60ELj15ELj4EdEEvi20rocsparse_direction_NS_24const_host_device_scalarIT2_EEPKiS6_PKS3_iiS8_S4_PS3_21rocsparse_index_base_b
		.amdhsa_group_segment_fixed_size 480
		.amdhsa_private_segment_fixed_size 0
		.amdhsa_kernarg_size 80
		.amdhsa_user_sgpr_count 2
		.amdhsa_user_sgpr_dispatch_ptr 0
		.amdhsa_user_sgpr_queue_ptr 0
		.amdhsa_user_sgpr_kernarg_segment_ptr 1
		.amdhsa_user_sgpr_dispatch_id 0
		.amdhsa_user_sgpr_kernarg_preload_length 0
		.amdhsa_user_sgpr_kernarg_preload_offset 0
		.amdhsa_user_sgpr_private_segment_size 0
		.amdhsa_wavefront_size32 1
		.amdhsa_uses_dynamic_stack 0
		.amdhsa_enable_private_segment 0
		.amdhsa_system_sgpr_workgroup_id_x 1
		.amdhsa_system_sgpr_workgroup_id_y 0
		.amdhsa_system_sgpr_workgroup_id_z 0
		.amdhsa_system_sgpr_workgroup_info 0
		.amdhsa_system_vgpr_workitem_id 0
		.amdhsa_next_free_vgpr 16
		.amdhsa_next_free_sgpr 16
		.amdhsa_named_barrier_count 0
		.amdhsa_reserve_vcc 1
		.amdhsa_float_round_mode_32 0
		.amdhsa_float_round_mode_16_64 0
		.amdhsa_float_denorm_mode_32 3
		.amdhsa_float_denorm_mode_16_64 3
		.amdhsa_fp16_overflow 0
		.amdhsa_memory_ordered 1
		.amdhsa_forward_progress 1
		.amdhsa_inst_pref_size 8
		.amdhsa_round_robin_scheduling 0
		.amdhsa_exception_fp_ieee_invalid_op 0
		.amdhsa_exception_fp_denorm_src 0
		.amdhsa_exception_fp_ieee_div_zero 0
		.amdhsa_exception_fp_ieee_overflow 0
		.amdhsa_exception_fp_ieee_underflow 0
		.amdhsa_exception_fp_ieee_inexact 0
		.amdhsa_exception_int_div_zero 0
	.end_amdhsa_kernel
	.section	.text._ZN9rocsparseL22gebsrmvn_mxn_16_kernelILj60ELj15ELj4EdEEvi20rocsparse_direction_NS_24const_host_device_scalarIT2_EEPKiS6_PKS3_iiS8_S4_PS3_21rocsparse_index_base_b,"axG",@progbits,_ZN9rocsparseL22gebsrmvn_mxn_16_kernelILj60ELj15ELj4EdEEvi20rocsparse_direction_NS_24const_host_device_scalarIT2_EEPKiS6_PKS3_iiS8_S4_PS3_21rocsparse_index_base_b,comdat
.Lfunc_end55:
	.size	_ZN9rocsparseL22gebsrmvn_mxn_16_kernelILj60ELj15ELj4EdEEvi20rocsparse_direction_NS_24const_host_device_scalarIT2_EEPKiS6_PKS3_iiS8_S4_PS3_21rocsparse_index_base_b, .Lfunc_end55-_ZN9rocsparseL22gebsrmvn_mxn_16_kernelILj60ELj15ELj4EdEEvi20rocsparse_direction_NS_24const_host_device_scalarIT2_EEPKiS6_PKS3_iiS8_S4_PS3_21rocsparse_index_base_b
                                        ; -- End function
	.set _ZN9rocsparseL22gebsrmvn_mxn_16_kernelILj60ELj15ELj4EdEEvi20rocsparse_direction_NS_24const_host_device_scalarIT2_EEPKiS6_PKS3_iiS8_S4_PS3_21rocsparse_index_base_b.num_vgpr, 16
	.set _ZN9rocsparseL22gebsrmvn_mxn_16_kernelILj60ELj15ELj4EdEEvi20rocsparse_direction_NS_24const_host_device_scalarIT2_EEPKiS6_PKS3_iiS8_S4_PS3_21rocsparse_index_base_b.num_agpr, 0
	.set _ZN9rocsparseL22gebsrmvn_mxn_16_kernelILj60ELj15ELj4EdEEvi20rocsparse_direction_NS_24const_host_device_scalarIT2_EEPKiS6_PKS3_iiS8_S4_PS3_21rocsparse_index_base_b.numbered_sgpr, 16
	.set _ZN9rocsparseL22gebsrmvn_mxn_16_kernelILj60ELj15ELj4EdEEvi20rocsparse_direction_NS_24const_host_device_scalarIT2_EEPKiS6_PKS3_iiS8_S4_PS3_21rocsparse_index_base_b.num_named_barrier, 0
	.set _ZN9rocsparseL22gebsrmvn_mxn_16_kernelILj60ELj15ELj4EdEEvi20rocsparse_direction_NS_24const_host_device_scalarIT2_EEPKiS6_PKS3_iiS8_S4_PS3_21rocsparse_index_base_b.private_seg_size, 0
	.set _ZN9rocsparseL22gebsrmvn_mxn_16_kernelILj60ELj15ELj4EdEEvi20rocsparse_direction_NS_24const_host_device_scalarIT2_EEPKiS6_PKS3_iiS8_S4_PS3_21rocsparse_index_base_b.uses_vcc, 1
	.set _ZN9rocsparseL22gebsrmvn_mxn_16_kernelILj60ELj15ELj4EdEEvi20rocsparse_direction_NS_24const_host_device_scalarIT2_EEPKiS6_PKS3_iiS8_S4_PS3_21rocsparse_index_base_b.uses_flat_scratch, 0
	.set _ZN9rocsparseL22gebsrmvn_mxn_16_kernelILj60ELj15ELj4EdEEvi20rocsparse_direction_NS_24const_host_device_scalarIT2_EEPKiS6_PKS3_iiS8_S4_PS3_21rocsparse_index_base_b.has_dyn_sized_stack, 0
	.set _ZN9rocsparseL22gebsrmvn_mxn_16_kernelILj60ELj15ELj4EdEEvi20rocsparse_direction_NS_24const_host_device_scalarIT2_EEPKiS6_PKS3_iiS8_S4_PS3_21rocsparse_index_base_b.has_recursion, 0
	.set _ZN9rocsparseL22gebsrmvn_mxn_16_kernelILj60ELj15ELj4EdEEvi20rocsparse_direction_NS_24const_host_device_scalarIT2_EEPKiS6_PKS3_iiS8_S4_PS3_21rocsparse_index_base_b.has_indirect_call, 0
	.section	.AMDGPU.csdata,"",@progbits
; Kernel info:
; codeLenInByte = 900
; TotalNumSgprs: 18
; NumVgprs: 16
; ScratchSize: 0
; MemoryBound: 0
; FloatMode: 240
; IeeeMode: 1
; LDSByteSize: 480 bytes/workgroup (compile time only)
; SGPRBlocks: 0
; VGPRBlocks: 0
; NumSGPRsForWavesPerEU: 18
; NumVGPRsForWavesPerEU: 16
; NamedBarCnt: 0
; Occupancy: 16
; WaveLimiterHint : 1
; COMPUTE_PGM_RSRC2:SCRATCH_EN: 0
; COMPUTE_PGM_RSRC2:USER_SGPR: 2
; COMPUTE_PGM_RSRC2:TRAP_HANDLER: 0
; COMPUTE_PGM_RSRC2:TGID_X_EN: 1
; COMPUTE_PGM_RSRC2:TGID_Y_EN: 0
; COMPUTE_PGM_RSRC2:TGID_Z_EN: 0
; COMPUTE_PGM_RSRC2:TIDIG_COMP_CNT: 0
	.section	.text._ZN9rocsparseL22gebsrmvn_mxn_16_kernelILj75ELj15ELj5EdEEvi20rocsparse_direction_NS_24const_host_device_scalarIT2_EEPKiS6_PKS3_iiS8_S4_PS3_21rocsparse_index_base_b,"axG",@progbits,_ZN9rocsparseL22gebsrmvn_mxn_16_kernelILj75ELj15ELj5EdEEvi20rocsparse_direction_NS_24const_host_device_scalarIT2_EEPKiS6_PKS3_iiS8_S4_PS3_21rocsparse_index_base_b,comdat
	.globl	_ZN9rocsparseL22gebsrmvn_mxn_16_kernelILj75ELj15ELj5EdEEvi20rocsparse_direction_NS_24const_host_device_scalarIT2_EEPKiS6_PKS3_iiS8_S4_PS3_21rocsparse_index_base_b ; -- Begin function _ZN9rocsparseL22gebsrmvn_mxn_16_kernelILj75ELj15ELj5EdEEvi20rocsparse_direction_NS_24const_host_device_scalarIT2_EEPKiS6_PKS3_iiS8_S4_PS3_21rocsparse_index_base_b
	.p2align	8
	.type	_ZN9rocsparseL22gebsrmvn_mxn_16_kernelILj75ELj15ELj5EdEEvi20rocsparse_direction_NS_24const_host_device_scalarIT2_EEPKiS6_PKS3_iiS8_S4_PS3_21rocsparse_index_base_b,@function
_ZN9rocsparseL22gebsrmvn_mxn_16_kernelILj75ELj15ELj5EdEEvi20rocsparse_direction_NS_24const_host_device_scalarIT2_EEPKiS6_PKS3_iiS8_S4_PS3_21rocsparse_index_base_b: ; @_ZN9rocsparseL22gebsrmvn_mxn_16_kernelILj75ELj15ELj5EdEEvi20rocsparse_direction_NS_24const_host_device_scalarIT2_EEPKiS6_PKS3_iiS8_S4_PS3_21rocsparse_index_base_b
; %bb.0:
	s_clause 0x2
	s_load_b64 s[10:11], s[0:1], 0x48
	s_load_b64 s[4:5], s[0:1], 0x8
	;; [unrolled: 1-line block ×3, first 2 shown]
	s_wait_kmcnt 0x0
	s_bitcmp1_b32 s11, 0
	v_mov_b64_e32 v[4:5], s[4:5]
	s_cselect_b32 s6, -1, 0
	s_delay_alu instid0(SALU_CYCLE_1)
	s_and_b32 vcc_lo, exec_lo, s6
	s_xor_b32 s6, s6, -1
	s_cbranch_vccnz .LBB56_2
; %bb.1:
	v_mov_b32_e32 v1, 0
	flat_load_b64 v[4:5], v1, s[4:5]
.LBB56_2:
	v_mov_b64_e32 v[2:3], s[2:3]
	s_and_not1_b32 vcc_lo, exec_lo, s6
	s_cbranch_vccnz .LBB56_4
; %bb.3:
	s_wait_xcnt 0x0
	v_mov_b32_e32 v1, 0
	flat_load_b64 v[2:3], v1, s[2:3]
.LBB56_4:
	s_wait_loadcnt_dscnt 0x0
	v_cmp_neq_f64_e32 vcc_lo, 0, v[4:5]
	s_delay_alu instid0(VALU_DEP_2) | instskip(SKIP_1) | instid1(SALU_CYCLE_1)
	v_cmp_neq_f64_e64 s2, 1.0, v[2:3]
	s_or_b32 s2, vcc_lo, s2
	s_and_saveexec_b32 s3, s2
	s_cbranch_execz .LBB56_37
; %bb.5:
	v_mul_u32_u24_e32 v1, 0x3334, v0
	s_clause 0x1
	s_load_b32 s4, s[0:1], 0x4
	s_load_b64 s[2:3], s[0:1], 0x10
	v_and_b32_e32 v9, 0xffff, v0
	v_lshrrev_b32_e32 v1, 16, v1
	s_delay_alu instid0(VALU_DEP_1) | instskip(NEXT) | instid1(VALU_DEP_1)
	v_mul_lo_u16 v1, v1, 5
	v_sub_nc_u16 v1, v0, v1
	s_delay_alu instid0(VALU_DEP_1) | instskip(SKIP_3) | instid1(SALU_CYCLE_1)
	v_and_b32_e32 v8, 0xffff, v1
	s_wait_kmcnt 0x0
	s_cmp_lg_u32 s4, 1
	s_cselect_b32 s11, -1, 0
	s_and_b32 vcc_lo, exec_lo, s11
	v_mov_b32_e32 v1, v8
	s_cbranch_vccnz .LBB56_7
; %bb.6:
	v_mul_u32_u24_e32 v1, 0x1112, v9
	s_delay_alu instid0(VALU_DEP_1) | instskip(NEXT) | instid1(VALU_DEP_1)
	v_lshrrev_b32_e32 v1, 16, v1
	v_mul_lo_u16 v6, v1, 52
	s_delay_alu instid0(VALU_DEP_1) | instskip(NEXT) | instid1(VALU_DEP_1)
	v_lshrrev_b16 v6, 8, v6
	v_mul_lo_u16 v6, v6, 5
	s_delay_alu instid0(VALU_DEP_1) | instskip(NEXT) | instid1(VALU_DEP_1)
	v_sub_nc_u16 v1, v1, v6
	v_and_b32_e32 v1, 0xff, v1
.LBB56_7:
	s_bfe_u32 s4, ttmp6, 0x4000c
	s_and_b32 s5, ttmp6, 15
	s_add_co_i32 s4, s4, 1
	s_getreg_b32 s6, hwreg(HW_REG_IB_STS2, 6, 4)
	s_mul_i32 s4, ttmp9, s4
	v_mov_b64_e32 v[6:7], 0
	s_add_co_i32 s5, s5, s4
	s_cmp_eq_u32 s6, 0
	s_cselect_b32 s8, ttmp9, s5
	s_delay_alu instid0(SALU_CYCLE_1) | instskip(NEXT) | instid1(SALU_CYCLE_1)
	s_ashr_i32 s9, s8, 31
	s_lshl_b64 s[4:5], s[8:9], 2
	s_delay_alu instid0(SALU_CYCLE_1)
	s_add_nc_u64 s[4:5], s[2:3], s[4:5]
	s_load_b64 s[14:15], s[4:5], 0x0
	s_load_b64 s[2:3], s[0:1], 0x40
	s_wait_kmcnt 0x0
	s_cmp_ge_i32 s14, s15
	s_cbranch_scc1 .LBB56_12
; %bb.8:
	s_clause 0x1
	s_load_b128 s[4:7], s[0:1], 0x18
	s_load_b64 s[12:13], s[0:1], 0x30
	v_mad_u32 v10, 0x4b, s14, v0
	v_mul_u32_u24_e32 v9, 0x36a, v9
	s_wait_xcnt 0x0
	s_mul_i32 s0, s10, 0x4b
	v_mov_b64_e32 v[6:7], 0
	s_sub_co_i32 s1, s14, s10
	v_lshrrev_b32_e32 v9, 16, v9
	s_delay_alu instid0(VALU_DEP_4)
	v_subrev_nc_u32_e32 v10, s0, v10
	s_sub_co_i32 s0, s15, s10
	s_branch .LBB56_10
.LBB56_9:                               ;   in Loop: Header=BB56_10 Depth=1
	s_or_b32 exec_lo, exec_lo, s9
	v_add_nc_u32_e32 v10, 0x4b, v10
	s_add_co_i32 s1, s1, 1
	s_delay_alu instid0(SALU_CYCLE_1)
	s_cmp_ge_i32 s1, s0
	s_cbranch_scc1 .LBB56_12
.LBB56_10:                              ; =>This Inner Loop Header: Depth=1
	s_delay_alu instid0(VALU_DEP_2) | instskip(SKIP_1) | instid1(VALU_DEP_1)
	v_add_nc_u32_e32 v11, s1, v9
	s_mov_b32 s9, exec_lo
	v_cmpx_gt_i32_e64 s0, v11
	s_cbranch_execz .LBB56_9
; %bb.11:                               ;   in Loop: Header=BB56_10 Depth=1
	s_wait_kmcnt 0x0
	global_load_b32 v11, v11, s[4:5] scale_offset
	s_wait_loadcnt 0x0
	v_subrev_nc_u32_e32 v11, s10, v11
	s_delay_alu instid0(VALU_DEP_1)
	v_mad_u32 v11, v11, 5, v1
	global_load_b64 v[12:13], v10, s[6:7] scale_offset
	global_load_b64 v[14:15], v11, s[12:13] scale_offset
	s_wait_loadcnt 0x0
	v_fmac_f64_e32 v[6:7], v[12:13], v[14:15]
	s_branch .LBB56_9
.LBB56_12:
	v_lshlrev_b32_e32 v1, 3, v0
	s_and_b32 vcc_lo, exec_lo, s11
	ds_store_b64 v1, v[6:7]
	s_wait_dscnt 0x0
	s_barrier_signal -1
	s_barrier_wait -1
	s_cbranch_vccz .LBB56_22
; %bb.13:
	v_cmp_eq_u16_e32 vcc_lo, 0, v8
	s_and_saveexec_b32 s0, vcc_lo
	s_cbranch_execz .LBB56_15
; %bb.14:
	ds_load_2addr_b64 v[10:13], v1 offset1:4
	s_wait_dscnt 0x0
	v_add_f64_e32 v[10:11], v[12:13], v[10:11]
	ds_store_b64 v1, v[10:11]
.LBB56_15:
	s_or_b32 exec_lo, exec_lo, s0
	s_delay_alu instid0(SALU_CYCLE_1)
	s_mov_b32 s1, exec_lo
	s_wait_dscnt 0x0
	s_barrier_signal -1
	s_barrier_wait -1
	v_cmpx_gt_u16_e32 2, v8
	s_cbranch_execz .LBB56_17
; %bb.16:
	ds_load_2addr_b64 v[8:11], v1 offset1:2
	s_wait_dscnt 0x0
	v_add_f64_e32 v[8:9], v[10:11], v[8:9]
	ds_store_b64 v1, v[8:9]
.LBB56_17:
	s_or_b32 exec_lo, exec_lo, s1
	s_wait_dscnt 0x0
	s_barrier_signal -1
	s_barrier_wait -1
	s_and_saveexec_b32 s0, vcc_lo
	s_cbranch_execz .LBB56_19
; %bb.18:
	ds_load_2addr_b64 v[8:11], v1 offset1:1
	s_wait_dscnt 0x0
	v_add_f64_e32 v[8:9], v[10:11], v[8:9]
	ds_store_b64 v1, v[8:9]
.LBB56_19:
	s_or_b32 exec_lo, exec_lo, s0
	v_mov_b64_e32 v[8:9], v[6:7]
	s_mov_b32 s0, exec_lo
	s_wait_dscnt 0x0
	s_barrier_signal -1
	s_barrier_wait -1
	v_cmpx_gt_u32_e32 15, v0
; %bb.20:
	v_lshl_add_u32 v8, v0, 5, v1
	ds_load_b64 v[8:9], v8
; %bb.21:
	s_or_b32 exec_lo, exec_lo, s0
	v_cmp_gt_u32_e64 s0, 15, v0
	s_branch .LBB56_32
.LBB56_22:
                                        ; implicit-def: $vgpr8_vgpr9
	v_cmp_gt_u32_e64 s0, 15, v0
	s_cbranch_execz .LBB56_32
; %bb.23:
	v_cmp_lt_u32_e32 vcc_lo, 14, v0
	s_and_saveexec_b32 s1, s0
	s_cbranch_execz .LBB56_25
; %bb.24:
	s_wait_dscnt 0x0
	ds_load_2addr_b64 v[8:11], v1 offset1:60
	s_wait_dscnt 0x0
	v_add_f64_e32 v[8:9], v[10:11], v[8:9]
	ds_store_b64 v1, v[8:9]
.LBB56_25:
	s_or_b32 exec_lo, exec_lo, s1
	s_delay_alu instid0(SALU_CYCLE_1)
	s_mov_b32 s1, exec_lo
	s_wait_dscnt 0x0
	s_barrier_signal -1
	s_barrier_wait -1
	v_cmpx_gt_u32_e32 30, v0
	s_cbranch_execz .LBB56_27
; %bb.26:
	ds_load_2addr_b64 v[8:11], v1 offset1:30
	s_wait_dscnt 0x0
	v_add_f64_e32 v[8:9], v[10:11], v[8:9]
	ds_store_b64 v1, v[8:9]
.LBB56_27:
	s_or_b32 exec_lo, exec_lo, s1
	s_wait_dscnt 0x0
	s_and_saveexec_b32 s0, vcc_lo
	s_delay_alu instid0(SALU_CYCLE_1)
	s_xor_b32 s0, exec_lo, s0
; %bb.28:
                                        ; implicit-def: $vgpr1
; %bb.29:
	s_delay_alu instid0(SALU_CYCLE_1)
	s_and_not1_saveexec_b32 s0, s0
	s_cbranch_execz .LBB56_31
; %bb.30:
	ds_load_2addr_b64 v[6:9], v1 offset1:15
	s_wait_dscnt 0x0
	v_add_f64_e32 v[6:7], v[8:9], v[6:7]
	ds_store_b64 v1, v[6:7]
	s_wait_dscnt 0x0
	ds_load_b64 v[6:7], v1
.LBB56_31:
	s_or_b32 exec_lo, exec_lo, s0
	s_wait_dscnt 0x0
	v_mov_b64_e32 v[8:9], v[6:7]
.LBB56_32:
	v_cmp_gt_u32_e32 vcc_lo, 15, v0
	s_and_b32 exec_lo, exec_lo, vcc_lo
	s_cbranch_execz .LBB56_37
; %bb.33:
	s_wait_dscnt 0x0
	s_delay_alu instid0(VALU_DEP_2)
	v_mul_f64_e32 v[4:5], v[4:5], v[8:9]
	v_mad_u32 v0, s8, 15, v0
	s_mov_b32 s0, exec_lo
	v_cmpx_eq_f64_e32 0, v[2:3]
	s_xor_b32 s0, exec_lo, s0
	s_cbranch_execz .LBB56_35
; %bb.34:
	global_store_b64 v0, v[4:5], s[2:3] scale_offset
                                        ; implicit-def: $vgpr0
                                        ; implicit-def: $vgpr2_vgpr3
                                        ; implicit-def: $vgpr4_vgpr5
.LBB56_35:
	s_wait_xcnt 0x0
	s_and_not1_saveexec_b32 s0, s0
	s_cbranch_execz .LBB56_37
; %bb.36:
	global_load_b64 v[6:7], v0, s[2:3] scale_offset
	s_wait_loadcnt 0x0
	v_fmac_f64_e32 v[4:5], v[2:3], v[6:7]
	global_store_b64 v0, v[4:5], s[2:3] scale_offset
.LBB56_37:
	s_endpgm
	.section	.rodata,"a",@progbits
	.p2align	6, 0x0
	.amdhsa_kernel _ZN9rocsparseL22gebsrmvn_mxn_16_kernelILj75ELj15ELj5EdEEvi20rocsparse_direction_NS_24const_host_device_scalarIT2_EEPKiS6_PKS3_iiS8_S4_PS3_21rocsparse_index_base_b
		.amdhsa_group_segment_fixed_size 600
		.amdhsa_private_segment_fixed_size 0
		.amdhsa_kernarg_size 80
		.amdhsa_user_sgpr_count 2
		.amdhsa_user_sgpr_dispatch_ptr 0
		.amdhsa_user_sgpr_queue_ptr 0
		.amdhsa_user_sgpr_kernarg_segment_ptr 1
		.amdhsa_user_sgpr_dispatch_id 0
		.amdhsa_user_sgpr_kernarg_preload_length 0
		.amdhsa_user_sgpr_kernarg_preload_offset 0
		.amdhsa_user_sgpr_private_segment_size 0
		.amdhsa_wavefront_size32 1
		.amdhsa_uses_dynamic_stack 0
		.amdhsa_enable_private_segment 0
		.amdhsa_system_sgpr_workgroup_id_x 1
		.amdhsa_system_sgpr_workgroup_id_y 0
		.amdhsa_system_sgpr_workgroup_id_z 0
		.amdhsa_system_sgpr_workgroup_info 0
		.amdhsa_system_vgpr_workitem_id 0
		.amdhsa_next_free_vgpr 16
		.amdhsa_next_free_sgpr 16
		.amdhsa_named_barrier_count 0
		.amdhsa_reserve_vcc 1
		.amdhsa_float_round_mode_32 0
		.amdhsa_float_round_mode_16_64 0
		.amdhsa_float_denorm_mode_32 3
		.amdhsa_float_denorm_mode_16_64 3
		.amdhsa_fp16_overflow 0
		.amdhsa_memory_ordered 1
		.amdhsa_forward_progress 1
		.amdhsa_inst_pref_size 9
		.amdhsa_round_robin_scheduling 0
		.amdhsa_exception_fp_ieee_invalid_op 0
		.amdhsa_exception_fp_denorm_src 0
		.amdhsa_exception_fp_ieee_div_zero 0
		.amdhsa_exception_fp_ieee_overflow 0
		.amdhsa_exception_fp_ieee_underflow 0
		.amdhsa_exception_fp_ieee_inexact 0
		.amdhsa_exception_int_div_zero 0
	.end_amdhsa_kernel
	.section	.text._ZN9rocsparseL22gebsrmvn_mxn_16_kernelILj75ELj15ELj5EdEEvi20rocsparse_direction_NS_24const_host_device_scalarIT2_EEPKiS6_PKS3_iiS8_S4_PS3_21rocsparse_index_base_b,"axG",@progbits,_ZN9rocsparseL22gebsrmvn_mxn_16_kernelILj75ELj15ELj5EdEEvi20rocsparse_direction_NS_24const_host_device_scalarIT2_EEPKiS6_PKS3_iiS8_S4_PS3_21rocsparse_index_base_b,comdat
.Lfunc_end56:
	.size	_ZN9rocsparseL22gebsrmvn_mxn_16_kernelILj75ELj15ELj5EdEEvi20rocsparse_direction_NS_24const_host_device_scalarIT2_EEPKiS6_PKS3_iiS8_S4_PS3_21rocsparse_index_base_b, .Lfunc_end56-_ZN9rocsparseL22gebsrmvn_mxn_16_kernelILj75ELj15ELj5EdEEvi20rocsparse_direction_NS_24const_host_device_scalarIT2_EEPKiS6_PKS3_iiS8_S4_PS3_21rocsparse_index_base_b
                                        ; -- End function
	.set _ZN9rocsparseL22gebsrmvn_mxn_16_kernelILj75ELj15ELj5EdEEvi20rocsparse_direction_NS_24const_host_device_scalarIT2_EEPKiS6_PKS3_iiS8_S4_PS3_21rocsparse_index_base_b.num_vgpr, 16
	.set _ZN9rocsparseL22gebsrmvn_mxn_16_kernelILj75ELj15ELj5EdEEvi20rocsparse_direction_NS_24const_host_device_scalarIT2_EEPKiS6_PKS3_iiS8_S4_PS3_21rocsparse_index_base_b.num_agpr, 0
	.set _ZN9rocsparseL22gebsrmvn_mxn_16_kernelILj75ELj15ELj5EdEEvi20rocsparse_direction_NS_24const_host_device_scalarIT2_EEPKiS6_PKS3_iiS8_S4_PS3_21rocsparse_index_base_b.numbered_sgpr, 16
	.set _ZN9rocsparseL22gebsrmvn_mxn_16_kernelILj75ELj15ELj5EdEEvi20rocsparse_direction_NS_24const_host_device_scalarIT2_EEPKiS6_PKS3_iiS8_S4_PS3_21rocsparse_index_base_b.num_named_barrier, 0
	.set _ZN9rocsparseL22gebsrmvn_mxn_16_kernelILj75ELj15ELj5EdEEvi20rocsparse_direction_NS_24const_host_device_scalarIT2_EEPKiS6_PKS3_iiS8_S4_PS3_21rocsparse_index_base_b.private_seg_size, 0
	.set _ZN9rocsparseL22gebsrmvn_mxn_16_kernelILj75ELj15ELj5EdEEvi20rocsparse_direction_NS_24const_host_device_scalarIT2_EEPKiS6_PKS3_iiS8_S4_PS3_21rocsparse_index_base_b.uses_vcc, 1
	.set _ZN9rocsparseL22gebsrmvn_mxn_16_kernelILj75ELj15ELj5EdEEvi20rocsparse_direction_NS_24const_host_device_scalarIT2_EEPKiS6_PKS3_iiS8_S4_PS3_21rocsparse_index_base_b.uses_flat_scratch, 0
	.set _ZN9rocsparseL22gebsrmvn_mxn_16_kernelILj75ELj15ELj5EdEEvi20rocsparse_direction_NS_24const_host_device_scalarIT2_EEPKiS6_PKS3_iiS8_S4_PS3_21rocsparse_index_base_b.has_dyn_sized_stack, 0
	.set _ZN9rocsparseL22gebsrmvn_mxn_16_kernelILj75ELj15ELj5EdEEvi20rocsparse_direction_NS_24const_host_device_scalarIT2_EEPKiS6_PKS3_iiS8_S4_PS3_21rocsparse_index_base_b.has_recursion, 0
	.set _ZN9rocsparseL22gebsrmvn_mxn_16_kernelILj75ELj15ELj5EdEEvi20rocsparse_direction_NS_24const_host_device_scalarIT2_EEPKiS6_PKS3_iiS8_S4_PS3_21rocsparse_index_base_b.has_indirect_call, 0
	.section	.AMDGPU.csdata,"",@progbits
; Kernel info:
; codeLenInByte = 1120
; TotalNumSgprs: 18
; NumVgprs: 16
; ScratchSize: 0
; MemoryBound: 0
; FloatMode: 240
; IeeeMode: 1
; LDSByteSize: 600 bytes/workgroup (compile time only)
; SGPRBlocks: 0
; VGPRBlocks: 0
; NumSGPRsForWavesPerEU: 18
; NumVGPRsForWavesPerEU: 16
; NamedBarCnt: 0
; Occupancy: 16
; WaveLimiterHint : 1
; COMPUTE_PGM_RSRC2:SCRATCH_EN: 0
; COMPUTE_PGM_RSRC2:USER_SGPR: 2
; COMPUTE_PGM_RSRC2:TRAP_HANDLER: 0
; COMPUTE_PGM_RSRC2:TGID_X_EN: 1
; COMPUTE_PGM_RSRC2:TGID_Y_EN: 0
; COMPUTE_PGM_RSRC2:TGID_Z_EN: 0
; COMPUTE_PGM_RSRC2:TIDIG_COMP_CNT: 0
	.section	.text._ZN9rocsparseL22gebsrmvn_mxn_16_kernelILj90ELj15ELj6EdEEvi20rocsparse_direction_NS_24const_host_device_scalarIT2_EEPKiS6_PKS3_iiS8_S4_PS3_21rocsparse_index_base_b,"axG",@progbits,_ZN9rocsparseL22gebsrmvn_mxn_16_kernelILj90ELj15ELj6EdEEvi20rocsparse_direction_NS_24const_host_device_scalarIT2_EEPKiS6_PKS3_iiS8_S4_PS3_21rocsparse_index_base_b,comdat
	.globl	_ZN9rocsparseL22gebsrmvn_mxn_16_kernelILj90ELj15ELj6EdEEvi20rocsparse_direction_NS_24const_host_device_scalarIT2_EEPKiS6_PKS3_iiS8_S4_PS3_21rocsparse_index_base_b ; -- Begin function _ZN9rocsparseL22gebsrmvn_mxn_16_kernelILj90ELj15ELj6EdEEvi20rocsparse_direction_NS_24const_host_device_scalarIT2_EEPKiS6_PKS3_iiS8_S4_PS3_21rocsparse_index_base_b
	.p2align	8
	.type	_ZN9rocsparseL22gebsrmvn_mxn_16_kernelILj90ELj15ELj6EdEEvi20rocsparse_direction_NS_24const_host_device_scalarIT2_EEPKiS6_PKS3_iiS8_S4_PS3_21rocsparse_index_base_b,@function
_ZN9rocsparseL22gebsrmvn_mxn_16_kernelILj90ELj15ELj6EdEEvi20rocsparse_direction_NS_24const_host_device_scalarIT2_EEPKiS6_PKS3_iiS8_S4_PS3_21rocsparse_index_base_b: ; @_ZN9rocsparseL22gebsrmvn_mxn_16_kernelILj90ELj15ELj6EdEEvi20rocsparse_direction_NS_24const_host_device_scalarIT2_EEPKiS6_PKS3_iiS8_S4_PS3_21rocsparse_index_base_b
; %bb.0:
	s_clause 0x2
	s_load_b64 s[10:11], s[0:1], 0x48
	s_load_b64 s[4:5], s[0:1], 0x8
	;; [unrolled: 1-line block ×3, first 2 shown]
	s_wait_kmcnt 0x0
	s_bitcmp1_b32 s11, 0
	v_mov_b64_e32 v[4:5], s[4:5]
	s_cselect_b32 s6, -1, 0
	s_delay_alu instid0(SALU_CYCLE_1)
	s_and_b32 vcc_lo, exec_lo, s6
	s_xor_b32 s6, s6, -1
	s_cbranch_vccnz .LBB57_2
; %bb.1:
	v_mov_b32_e32 v1, 0
	flat_load_b64 v[4:5], v1, s[4:5]
.LBB57_2:
	v_mov_b64_e32 v[2:3], s[2:3]
	s_and_not1_b32 vcc_lo, exec_lo, s6
	s_cbranch_vccnz .LBB57_4
; %bb.3:
	s_wait_xcnt 0x0
	v_mov_b32_e32 v1, 0
	flat_load_b64 v[2:3], v1, s[2:3]
.LBB57_4:
	s_wait_loadcnt_dscnt 0x0
	v_cmp_neq_f64_e32 vcc_lo, 0, v[4:5]
	s_delay_alu instid0(VALU_DEP_2) | instskip(SKIP_1) | instid1(SALU_CYCLE_1)
	v_cmp_neq_f64_e64 s2, 1.0, v[2:3]
	s_or_b32 s2, vcc_lo, s2
	s_and_saveexec_b32 s3, s2
	s_cbranch_execz .LBB57_37
; %bb.5:
	v_mul_u32_u24_e32 v1, 0x2aab, v0
	s_clause 0x1
	s_load_b32 s4, s[0:1], 0x4
	s_load_b64 s[2:3], s[0:1], 0x10
	v_and_b32_e32 v9, 0xffff, v0
	v_lshrrev_b32_e32 v1, 16, v1
	s_delay_alu instid0(VALU_DEP_1) | instskip(NEXT) | instid1(VALU_DEP_1)
	v_mul_lo_u16 v1, v1, 6
	v_sub_nc_u16 v1, v0, v1
	s_delay_alu instid0(VALU_DEP_1) | instskip(SKIP_3) | instid1(SALU_CYCLE_1)
	v_and_b32_e32 v8, 0xffff, v1
	s_wait_kmcnt 0x0
	s_cmp_lg_u32 s4, 1
	s_cselect_b32 s11, -1, 0
	s_and_b32 vcc_lo, exec_lo, s11
	v_mov_b32_e32 v1, v8
	s_cbranch_vccnz .LBB57_7
; %bb.6:
	v_mul_u32_u24_e32 v1, 0x1112, v9
	s_delay_alu instid0(VALU_DEP_1) | instskip(NEXT) | instid1(VALU_DEP_1)
	v_lshrrev_b32_e32 v1, 16, v1
	v_mul_lo_u16 v6, v1, 43
	s_delay_alu instid0(VALU_DEP_1) | instskip(NEXT) | instid1(VALU_DEP_1)
	v_lshrrev_b16 v6, 8, v6
	v_mul_lo_u16 v6, v6, 6
	s_delay_alu instid0(VALU_DEP_1) | instskip(NEXT) | instid1(VALU_DEP_1)
	v_sub_nc_u16 v1, v1, v6
	v_and_b32_e32 v1, 0xff, v1
.LBB57_7:
	s_bfe_u32 s4, ttmp6, 0x4000c
	s_and_b32 s5, ttmp6, 15
	s_add_co_i32 s4, s4, 1
	s_getreg_b32 s6, hwreg(HW_REG_IB_STS2, 6, 4)
	s_mul_i32 s4, ttmp9, s4
	v_mov_b64_e32 v[6:7], 0
	s_add_co_i32 s5, s5, s4
	s_cmp_eq_u32 s6, 0
	s_cselect_b32 s8, ttmp9, s5
	s_delay_alu instid0(SALU_CYCLE_1) | instskip(NEXT) | instid1(SALU_CYCLE_1)
	s_ashr_i32 s9, s8, 31
	s_lshl_b64 s[4:5], s[8:9], 2
	s_delay_alu instid0(SALU_CYCLE_1)
	s_add_nc_u64 s[4:5], s[2:3], s[4:5]
	s_load_b64 s[14:15], s[4:5], 0x0
	s_load_b64 s[2:3], s[0:1], 0x40
	s_wait_kmcnt 0x0
	s_cmp_ge_i32 s14, s15
	s_cbranch_scc1 .LBB57_12
; %bb.8:
	s_clause 0x1
	s_load_b128 s[4:7], s[0:1], 0x18
	s_load_b64 s[12:13], s[0:1], 0x30
	v_mad_u32 v10, 0x5a, s14, v0
	v_mul_u32_u24_e32 v9, 0x2d9, v9
	s_wait_xcnt 0x0
	s_mul_i32 s0, s10, 0x5a
	v_mov_b64_e32 v[6:7], 0
	s_sub_co_i32 s1, s14, s10
	v_lshrrev_b32_e32 v9, 16, v9
	s_delay_alu instid0(VALU_DEP_4)
	v_subrev_nc_u32_e32 v10, s0, v10
	s_sub_co_i32 s0, s15, s10
	s_branch .LBB57_10
.LBB57_9:                               ;   in Loop: Header=BB57_10 Depth=1
	s_or_b32 exec_lo, exec_lo, s9
	v_add_nc_u32_e32 v10, 0x5a, v10
	s_add_co_i32 s1, s1, 1
	s_delay_alu instid0(SALU_CYCLE_1)
	s_cmp_ge_i32 s1, s0
	s_cbranch_scc1 .LBB57_12
.LBB57_10:                              ; =>This Inner Loop Header: Depth=1
	s_delay_alu instid0(VALU_DEP_2) | instskip(SKIP_1) | instid1(VALU_DEP_1)
	v_add_nc_u32_e32 v11, s1, v9
	s_mov_b32 s9, exec_lo
	v_cmpx_gt_i32_e64 s0, v11
	s_cbranch_execz .LBB57_9
; %bb.11:                               ;   in Loop: Header=BB57_10 Depth=1
	s_wait_kmcnt 0x0
	global_load_b32 v11, v11, s[4:5] scale_offset
	s_wait_loadcnt 0x0
	v_subrev_nc_u32_e32 v11, s10, v11
	s_delay_alu instid0(VALU_DEP_1)
	v_mad_u32 v11, v11, 6, v1
	global_load_b64 v[12:13], v10, s[6:7] scale_offset
	global_load_b64 v[14:15], v11, s[12:13] scale_offset
	s_wait_loadcnt 0x0
	v_fmac_f64_e32 v[6:7], v[12:13], v[14:15]
	s_branch .LBB57_9
.LBB57_12:
	v_lshlrev_b32_e32 v1, 3, v0
	s_and_b32 vcc_lo, exec_lo, s11
	ds_store_b64 v1, v[6:7]
	s_wait_dscnt 0x0
	s_barrier_signal -1
	s_barrier_wait -1
	s_cbranch_vccz .LBB57_22
; %bb.13:
	v_cmp_gt_u16_e32 vcc_lo, 2, v8
	s_and_saveexec_b32 s0, vcc_lo
	s_cbranch_execz .LBB57_15
; %bb.14:
	ds_load_2addr_b64 v[10:13], v1 offset1:4
	s_wait_dscnt 0x0
	v_add_f64_e32 v[10:11], v[12:13], v[10:11]
	ds_store_b64 v1, v[10:11]
.LBB57_15:
	s_or_b32 exec_lo, exec_lo, s0
	s_wait_dscnt 0x0
	s_barrier_signal -1
	s_barrier_wait -1
	s_and_saveexec_b32 s0, vcc_lo
	s_cbranch_execz .LBB57_17
; %bb.16:
	ds_load_2addr_b64 v[10:13], v1 offset1:2
	s_wait_dscnt 0x0
	v_add_f64_e32 v[10:11], v[12:13], v[10:11]
	ds_store_b64 v1, v[10:11]
.LBB57_17:
	s_or_b32 exec_lo, exec_lo, s0
	s_delay_alu instid0(SALU_CYCLE_1)
	s_mov_b32 s0, exec_lo
	s_wait_dscnt 0x0
	s_barrier_signal -1
	s_barrier_wait -1
	v_cmpx_eq_u16_e32 0, v8
	s_cbranch_execz .LBB57_19
; %bb.18:
	ds_load_2addr_b64 v[8:11], v1 offset1:1
	s_wait_dscnt 0x0
	v_add_f64_e32 v[8:9], v[10:11], v[8:9]
	ds_store_b64 v1, v[8:9]
.LBB57_19:
	s_or_b32 exec_lo, exec_lo, s0
	v_mov_b64_e32 v[8:9], v[6:7]
	s_mov_b32 s0, exec_lo
	s_wait_dscnt 0x0
	s_barrier_signal -1
	s_barrier_wait -1
	v_cmpx_gt_u32_e32 15, v0
; %bb.20:
	v_mad_u32_u24 v8, v0, 40, v1
	ds_load_b64 v[8:9], v8
; %bb.21:
	s_or_b32 exec_lo, exec_lo, s0
	s_branch .LBB57_32
.LBB57_22:
                                        ; implicit-def: $vgpr8_vgpr9
	s_cbranch_execz .LBB57_32
; %bb.23:
	v_cmp_gt_u32_e32 vcc_lo, 30, v0
	s_and_saveexec_b32 s0, vcc_lo
	s_cbranch_execz .LBB57_25
; %bb.24:
	s_wait_dscnt 0x0
	ds_load_2addr_b64 v[8:11], v1 offset1:60
	s_wait_dscnt 0x0
	v_add_f64_e32 v[8:9], v[10:11], v[8:9]
	ds_store_b64 v1, v[8:9]
.LBB57_25:
	s_or_b32 exec_lo, exec_lo, s0
	s_wait_dscnt 0x0
	s_barrier_signal -1
	s_barrier_wait -1
	s_and_saveexec_b32 s0, vcc_lo
	s_cbranch_execz .LBB57_27
; %bb.26:
	ds_load_2addr_b64 v[8:11], v1 offset1:30
	s_wait_dscnt 0x0
	v_add_f64_e32 v[8:9], v[10:11], v[8:9]
	ds_store_b64 v1, v[8:9]
.LBB57_27:
	s_or_b32 exec_lo, exec_lo, s0
	s_delay_alu instid0(SALU_CYCLE_1)
	s_mov_b32 s0, exec_lo
	s_wait_dscnt 0x0
	v_cmpx_lt_u32_e32 14, v0
	s_xor_b32 s0, exec_lo, s0
; %bb.28:
                                        ; implicit-def: $vgpr1
; %bb.29:
	s_delay_alu instid0(SALU_CYCLE_1)
	s_and_not1_saveexec_b32 s0, s0
	s_cbranch_execz .LBB57_31
; %bb.30:
	ds_load_2addr_b64 v[6:9], v1 offset1:15
	s_wait_dscnt 0x0
	v_add_f64_e32 v[6:7], v[8:9], v[6:7]
	ds_store_b64 v1, v[6:7]
	s_wait_dscnt 0x0
	ds_load_b64 v[6:7], v1
.LBB57_31:
	s_or_b32 exec_lo, exec_lo, s0
	s_wait_dscnt 0x0
	v_mov_b64_e32 v[8:9], v[6:7]
.LBB57_32:
	v_cmp_gt_u32_e32 vcc_lo, 15, v0
	s_and_b32 exec_lo, exec_lo, vcc_lo
	s_cbranch_execz .LBB57_37
; %bb.33:
	s_wait_dscnt 0x0
	s_delay_alu instid0(VALU_DEP_2)
	v_mul_f64_e32 v[4:5], v[4:5], v[8:9]
	v_mad_u32 v0, s8, 15, v0
	s_mov_b32 s0, exec_lo
	v_cmpx_eq_f64_e32 0, v[2:3]
	s_xor_b32 s0, exec_lo, s0
	s_cbranch_execz .LBB57_35
; %bb.34:
	global_store_b64 v0, v[4:5], s[2:3] scale_offset
                                        ; implicit-def: $vgpr0
                                        ; implicit-def: $vgpr2_vgpr3
                                        ; implicit-def: $vgpr4_vgpr5
.LBB57_35:
	s_wait_xcnt 0x0
	s_and_not1_saveexec_b32 s0, s0
	s_cbranch_execz .LBB57_37
; %bb.36:
	global_load_b64 v[6:7], v0, s[2:3] scale_offset
	s_wait_loadcnt 0x0
	v_fmac_f64_e32 v[4:5], v[2:3], v[6:7]
	global_store_b64 v0, v[4:5], s[2:3] scale_offset
.LBB57_37:
	s_endpgm
	.section	.rodata,"a",@progbits
	.p2align	6, 0x0
	.amdhsa_kernel _ZN9rocsparseL22gebsrmvn_mxn_16_kernelILj90ELj15ELj6EdEEvi20rocsparse_direction_NS_24const_host_device_scalarIT2_EEPKiS6_PKS3_iiS8_S4_PS3_21rocsparse_index_base_b
		.amdhsa_group_segment_fixed_size 720
		.amdhsa_private_segment_fixed_size 0
		.amdhsa_kernarg_size 80
		.amdhsa_user_sgpr_count 2
		.amdhsa_user_sgpr_dispatch_ptr 0
		.amdhsa_user_sgpr_queue_ptr 0
		.amdhsa_user_sgpr_kernarg_segment_ptr 1
		.amdhsa_user_sgpr_dispatch_id 0
		.amdhsa_user_sgpr_kernarg_preload_length 0
		.amdhsa_user_sgpr_kernarg_preload_offset 0
		.amdhsa_user_sgpr_private_segment_size 0
		.amdhsa_wavefront_size32 1
		.amdhsa_uses_dynamic_stack 0
		.amdhsa_enable_private_segment 0
		.amdhsa_system_sgpr_workgroup_id_x 1
		.amdhsa_system_sgpr_workgroup_id_y 0
		.amdhsa_system_sgpr_workgroup_id_z 0
		.amdhsa_system_sgpr_workgroup_info 0
		.amdhsa_system_vgpr_workitem_id 0
		.amdhsa_next_free_vgpr 16
		.amdhsa_next_free_sgpr 16
		.amdhsa_named_barrier_count 0
		.amdhsa_reserve_vcc 1
		.amdhsa_float_round_mode_32 0
		.amdhsa_float_round_mode_16_64 0
		.amdhsa_float_denorm_mode_32 3
		.amdhsa_float_denorm_mode_16_64 3
		.amdhsa_fp16_overflow 0
		.amdhsa_memory_ordered 1
		.amdhsa_forward_progress 1
		.amdhsa_inst_pref_size 9
		.amdhsa_round_robin_scheduling 0
		.amdhsa_exception_fp_ieee_invalid_op 0
		.amdhsa_exception_fp_denorm_src 0
		.amdhsa_exception_fp_ieee_div_zero 0
		.amdhsa_exception_fp_ieee_overflow 0
		.amdhsa_exception_fp_ieee_underflow 0
		.amdhsa_exception_fp_ieee_inexact 0
		.amdhsa_exception_int_div_zero 0
	.end_amdhsa_kernel
	.section	.text._ZN9rocsparseL22gebsrmvn_mxn_16_kernelILj90ELj15ELj6EdEEvi20rocsparse_direction_NS_24const_host_device_scalarIT2_EEPKiS6_PKS3_iiS8_S4_PS3_21rocsparse_index_base_b,"axG",@progbits,_ZN9rocsparseL22gebsrmvn_mxn_16_kernelILj90ELj15ELj6EdEEvi20rocsparse_direction_NS_24const_host_device_scalarIT2_EEPKiS6_PKS3_iiS8_S4_PS3_21rocsparse_index_base_b,comdat
.Lfunc_end57:
	.size	_ZN9rocsparseL22gebsrmvn_mxn_16_kernelILj90ELj15ELj6EdEEvi20rocsparse_direction_NS_24const_host_device_scalarIT2_EEPKiS6_PKS3_iiS8_S4_PS3_21rocsparse_index_base_b, .Lfunc_end57-_ZN9rocsparseL22gebsrmvn_mxn_16_kernelILj90ELj15ELj6EdEEvi20rocsparse_direction_NS_24const_host_device_scalarIT2_EEPKiS6_PKS3_iiS8_S4_PS3_21rocsparse_index_base_b
                                        ; -- End function
	.set _ZN9rocsparseL22gebsrmvn_mxn_16_kernelILj90ELj15ELj6EdEEvi20rocsparse_direction_NS_24const_host_device_scalarIT2_EEPKiS6_PKS3_iiS8_S4_PS3_21rocsparse_index_base_b.num_vgpr, 16
	.set _ZN9rocsparseL22gebsrmvn_mxn_16_kernelILj90ELj15ELj6EdEEvi20rocsparse_direction_NS_24const_host_device_scalarIT2_EEPKiS6_PKS3_iiS8_S4_PS3_21rocsparse_index_base_b.num_agpr, 0
	.set _ZN9rocsparseL22gebsrmvn_mxn_16_kernelILj90ELj15ELj6EdEEvi20rocsparse_direction_NS_24const_host_device_scalarIT2_EEPKiS6_PKS3_iiS8_S4_PS3_21rocsparse_index_base_b.numbered_sgpr, 16
	.set _ZN9rocsparseL22gebsrmvn_mxn_16_kernelILj90ELj15ELj6EdEEvi20rocsparse_direction_NS_24const_host_device_scalarIT2_EEPKiS6_PKS3_iiS8_S4_PS3_21rocsparse_index_base_b.num_named_barrier, 0
	.set _ZN9rocsparseL22gebsrmvn_mxn_16_kernelILj90ELj15ELj6EdEEvi20rocsparse_direction_NS_24const_host_device_scalarIT2_EEPKiS6_PKS3_iiS8_S4_PS3_21rocsparse_index_base_b.private_seg_size, 0
	.set _ZN9rocsparseL22gebsrmvn_mxn_16_kernelILj90ELj15ELj6EdEEvi20rocsparse_direction_NS_24const_host_device_scalarIT2_EEPKiS6_PKS3_iiS8_S4_PS3_21rocsparse_index_base_b.uses_vcc, 1
	.set _ZN9rocsparseL22gebsrmvn_mxn_16_kernelILj90ELj15ELj6EdEEvi20rocsparse_direction_NS_24const_host_device_scalarIT2_EEPKiS6_PKS3_iiS8_S4_PS3_21rocsparse_index_base_b.uses_flat_scratch, 0
	.set _ZN9rocsparseL22gebsrmvn_mxn_16_kernelILj90ELj15ELj6EdEEvi20rocsparse_direction_NS_24const_host_device_scalarIT2_EEPKiS6_PKS3_iiS8_S4_PS3_21rocsparse_index_base_b.has_dyn_sized_stack, 0
	.set _ZN9rocsparseL22gebsrmvn_mxn_16_kernelILj90ELj15ELj6EdEEvi20rocsparse_direction_NS_24const_host_device_scalarIT2_EEPKiS6_PKS3_iiS8_S4_PS3_21rocsparse_index_base_b.has_recursion, 0
	.set _ZN9rocsparseL22gebsrmvn_mxn_16_kernelILj90ELj15ELj6EdEEvi20rocsparse_direction_NS_24const_host_device_scalarIT2_EEPKiS6_PKS3_iiS8_S4_PS3_21rocsparse_index_base_b.has_indirect_call, 0
	.section	.AMDGPU.csdata,"",@progbits
; Kernel info:
; codeLenInByte = 1100
; TotalNumSgprs: 18
; NumVgprs: 16
; ScratchSize: 0
; MemoryBound: 0
; FloatMode: 240
; IeeeMode: 1
; LDSByteSize: 720 bytes/workgroup (compile time only)
; SGPRBlocks: 0
; VGPRBlocks: 0
; NumSGPRsForWavesPerEU: 18
; NumVGPRsForWavesPerEU: 16
; NamedBarCnt: 0
; Occupancy: 16
; WaveLimiterHint : 1
; COMPUTE_PGM_RSRC2:SCRATCH_EN: 0
; COMPUTE_PGM_RSRC2:USER_SGPR: 2
; COMPUTE_PGM_RSRC2:TRAP_HANDLER: 0
; COMPUTE_PGM_RSRC2:TGID_X_EN: 1
; COMPUTE_PGM_RSRC2:TGID_Y_EN: 0
; COMPUTE_PGM_RSRC2:TGID_Z_EN: 0
; COMPUTE_PGM_RSRC2:TIDIG_COMP_CNT: 0
	.section	.text._ZN9rocsparseL22gebsrmvn_mxn_16_kernelILj105ELj15ELj7EdEEvi20rocsparse_direction_NS_24const_host_device_scalarIT2_EEPKiS6_PKS3_iiS8_S4_PS3_21rocsparse_index_base_b,"axG",@progbits,_ZN9rocsparseL22gebsrmvn_mxn_16_kernelILj105ELj15ELj7EdEEvi20rocsparse_direction_NS_24const_host_device_scalarIT2_EEPKiS6_PKS3_iiS8_S4_PS3_21rocsparse_index_base_b,comdat
	.globl	_ZN9rocsparseL22gebsrmvn_mxn_16_kernelILj105ELj15ELj7EdEEvi20rocsparse_direction_NS_24const_host_device_scalarIT2_EEPKiS6_PKS3_iiS8_S4_PS3_21rocsparse_index_base_b ; -- Begin function _ZN9rocsparseL22gebsrmvn_mxn_16_kernelILj105ELj15ELj7EdEEvi20rocsparse_direction_NS_24const_host_device_scalarIT2_EEPKiS6_PKS3_iiS8_S4_PS3_21rocsparse_index_base_b
	.p2align	8
	.type	_ZN9rocsparseL22gebsrmvn_mxn_16_kernelILj105ELj15ELj7EdEEvi20rocsparse_direction_NS_24const_host_device_scalarIT2_EEPKiS6_PKS3_iiS8_S4_PS3_21rocsparse_index_base_b,@function
_ZN9rocsparseL22gebsrmvn_mxn_16_kernelILj105ELj15ELj7EdEEvi20rocsparse_direction_NS_24const_host_device_scalarIT2_EEPKiS6_PKS3_iiS8_S4_PS3_21rocsparse_index_base_b: ; @_ZN9rocsparseL22gebsrmvn_mxn_16_kernelILj105ELj15ELj7EdEEvi20rocsparse_direction_NS_24const_host_device_scalarIT2_EEPKiS6_PKS3_iiS8_S4_PS3_21rocsparse_index_base_b
; %bb.0:
	s_clause 0x2
	s_load_b64 s[10:11], s[0:1], 0x48
	s_load_b64 s[4:5], s[0:1], 0x8
	;; [unrolled: 1-line block ×3, first 2 shown]
	s_wait_kmcnt 0x0
	s_bitcmp1_b32 s11, 0
	v_mov_b64_e32 v[4:5], s[4:5]
	s_cselect_b32 s6, -1, 0
	s_delay_alu instid0(SALU_CYCLE_1)
	s_and_b32 vcc_lo, exec_lo, s6
	s_xor_b32 s6, s6, -1
	s_cbranch_vccnz .LBB58_2
; %bb.1:
	v_mov_b32_e32 v1, 0
	flat_load_b64 v[4:5], v1, s[4:5]
.LBB58_2:
	v_mov_b64_e32 v[2:3], s[2:3]
	s_and_not1_b32 vcc_lo, exec_lo, s6
	s_cbranch_vccnz .LBB58_4
; %bb.3:
	s_wait_xcnt 0x0
	v_mov_b32_e32 v1, 0
	flat_load_b64 v[2:3], v1, s[2:3]
.LBB58_4:
	s_wait_loadcnt_dscnt 0x0
	v_cmp_neq_f64_e32 vcc_lo, 0, v[4:5]
	s_delay_alu instid0(VALU_DEP_2) | instskip(SKIP_1) | instid1(SALU_CYCLE_1)
	v_cmp_neq_f64_e64 s2, 1.0, v[2:3]
	s_or_b32 s2, vcc_lo, s2
	s_and_saveexec_b32 s3, s2
	s_cbranch_execz .LBB58_37
; %bb.5:
	v_mul_u32_u24_e32 v1, 0x2493, v0
	s_clause 0x1
	s_load_b32 s4, s[0:1], 0x4
	s_load_b64 s[2:3], s[0:1], 0x10
	v_and_b32_e32 v9, 0xffff, v0
	v_lshrrev_b32_e32 v1, 16, v1
	s_delay_alu instid0(VALU_DEP_1) | instskip(NEXT) | instid1(VALU_DEP_1)
	v_mul_lo_u16 v1, v1, 7
	v_sub_nc_u16 v1, v0, v1
	s_delay_alu instid0(VALU_DEP_1) | instskip(SKIP_3) | instid1(SALU_CYCLE_1)
	v_and_b32_e32 v8, 0xffff, v1
	s_wait_kmcnt 0x0
	s_cmp_lg_u32 s4, 1
	s_cselect_b32 s11, -1, 0
	s_and_b32 vcc_lo, exec_lo, s11
	v_mov_b32_e32 v1, v8
	s_cbranch_vccnz .LBB58_7
; %bb.6:
	v_mul_u32_u24_e32 v1, 0x1112, v9
	s_delay_alu instid0(VALU_DEP_1) | instskip(NEXT) | instid1(VALU_DEP_1)
	v_lshrrev_b32_e32 v1, 16, v1
	v_mul_lo_u16 v6, v1, 37
	s_delay_alu instid0(VALU_DEP_1) | instskip(NEXT) | instid1(VALU_DEP_1)
	v_lshrrev_b16 v6, 8, v6
	v_mul_lo_u16 v6, v6, 7
	s_delay_alu instid0(VALU_DEP_1) | instskip(NEXT) | instid1(VALU_DEP_1)
	v_sub_nc_u16 v1, v1, v6
	v_and_b32_e32 v1, 0xff, v1
.LBB58_7:
	s_bfe_u32 s4, ttmp6, 0x4000c
	s_and_b32 s5, ttmp6, 15
	s_add_co_i32 s4, s4, 1
	s_getreg_b32 s6, hwreg(HW_REG_IB_STS2, 6, 4)
	s_mul_i32 s4, ttmp9, s4
	v_mov_b64_e32 v[6:7], 0
	s_add_co_i32 s5, s5, s4
	s_cmp_eq_u32 s6, 0
	s_cselect_b32 s8, ttmp9, s5
	s_delay_alu instid0(SALU_CYCLE_1) | instskip(NEXT) | instid1(SALU_CYCLE_1)
	s_ashr_i32 s9, s8, 31
	s_lshl_b64 s[4:5], s[8:9], 2
	s_delay_alu instid0(SALU_CYCLE_1)
	s_add_nc_u64 s[4:5], s[2:3], s[4:5]
	s_load_b64 s[14:15], s[4:5], 0x0
	s_load_b64 s[2:3], s[0:1], 0x40
	s_wait_kmcnt 0x0
	s_cmp_ge_i32 s14, s15
	s_cbranch_scc1 .LBB58_12
; %bb.8:
	s_clause 0x1
	s_load_b128 s[4:7], s[0:1], 0x18
	s_load_b64 s[12:13], s[0:1], 0x30
	v_mad_u32 v10, 0x69, s14, v0
	v_mul_u32_u24_e32 v9, 0x271, v9
	s_wait_xcnt 0x0
	s_mul_i32 s0, s10, 0x69
	v_mov_b64_e32 v[6:7], 0
	s_sub_co_i32 s1, s14, s10
	v_lshrrev_b32_e32 v9, 16, v9
	s_delay_alu instid0(VALU_DEP_4)
	v_subrev_nc_u32_e32 v10, s0, v10
	s_sub_co_i32 s0, s15, s10
	s_branch .LBB58_10
.LBB58_9:                               ;   in Loop: Header=BB58_10 Depth=1
	s_or_b32 exec_lo, exec_lo, s9
	v_add_nc_u32_e32 v10, 0x69, v10
	s_add_co_i32 s1, s1, 1
	s_delay_alu instid0(SALU_CYCLE_1)
	s_cmp_ge_i32 s1, s0
	s_cbranch_scc1 .LBB58_12
.LBB58_10:                              ; =>This Inner Loop Header: Depth=1
	s_delay_alu instid0(VALU_DEP_2) | instskip(SKIP_1) | instid1(VALU_DEP_1)
	v_add_nc_u32_e32 v11, s1, v9
	s_mov_b32 s9, exec_lo
	v_cmpx_gt_i32_e64 s0, v11
	s_cbranch_execz .LBB58_9
; %bb.11:                               ;   in Loop: Header=BB58_10 Depth=1
	s_wait_kmcnt 0x0
	global_load_b32 v11, v11, s[4:5] scale_offset
	s_wait_loadcnt 0x0
	v_subrev_nc_u32_e32 v11, s10, v11
	s_delay_alu instid0(VALU_DEP_1)
	v_mad_u32 v11, v11, 7, v1
	global_load_b64 v[12:13], v10, s[6:7] scale_offset
	global_load_b64 v[14:15], v11, s[12:13] scale_offset
	s_wait_loadcnt 0x0
	v_fmac_f64_e32 v[6:7], v[12:13], v[14:15]
	s_branch .LBB58_9
.LBB58_12:
	v_lshlrev_b32_e32 v1, 3, v0
	s_and_b32 vcc_lo, exec_lo, s11
	ds_store_b64 v1, v[6:7]
	s_wait_dscnt 0x0
	s_barrier_signal -1
	s_barrier_wait -1
	s_cbranch_vccz .LBB58_22
; %bb.13:
	s_mov_b32 s0, exec_lo
	v_cmpx_gt_u16_e32 3, v8
	s_cbranch_execz .LBB58_15
; %bb.14:
	ds_load_2addr_b64 v[10:13], v1 offset1:4
	s_wait_dscnt 0x0
	v_add_f64_e32 v[10:11], v[12:13], v[10:11]
	ds_store_b64 v1, v[10:11]
.LBB58_15:
	s_or_b32 exec_lo, exec_lo, s0
	s_delay_alu instid0(SALU_CYCLE_1)
	s_mov_b32 s0, exec_lo
	s_wait_dscnt 0x0
	s_barrier_signal -1
	s_barrier_wait -1
	v_cmpx_gt_u16_e32 2, v8
	s_cbranch_execz .LBB58_17
; %bb.16:
	ds_load_2addr_b64 v[10:13], v1 offset1:2
	s_wait_dscnt 0x0
	v_add_f64_e32 v[10:11], v[12:13], v[10:11]
	ds_store_b64 v1, v[10:11]
.LBB58_17:
	s_or_b32 exec_lo, exec_lo, s0
	s_delay_alu instid0(SALU_CYCLE_1)
	s_mov_b32 s0, exec_lo
	s_wait_dscnt 0x0
	s_barrier_signal -1
	s_barrier_wait -1
	v_cmpx_eq_u16_e32 0, v8
	s_cbranch_execz .LBB58_19
; %bb.18:
	ds_load_2addr_b64 v[8:11], v1 offset1:1
	s_wait_dscnt 0x0
	v_add_f64_e32 v[8:9], v[10:11], v[8:9]
	ds_store_b64 v1, v[8:9]
.LBB58_19:
	s_or_b32 exec_lo, exec_lo, s0
	v_mov_b64_e32 v[8:9], v[6:7]
	s_mov_b32 s0, exec_lo
	s_wait_dscnt 0x0
	s_barrier_signal -1
	s_barrier_wait -1
	v_cmpx_gt_u32_e32 15, v0
; %bb.20:
	v_mad_u32_u24 v8, v0, 48, v1
	ds_load_b64 v[8:9], v8
; %bb.21:
	s_or_b32 exec_lo, exec_lo, s0
	s_branch .LBB58_32
.LBB58_22:
                                        ; implicit-def: $vgpr8_vgpr9
	s_cbranch_execz .LBB58_32
; %bb.23:
	s_mov_b32 s0, exec_lo
	v_cmpx_gt_u32_e32 45, v0
	s_cbranch_execz .LBB58_25
; %bb.24:
	s_wait_dscnt 0x0
	ds_load_2addr_b64 v[8:11], v1 offset1:60
	s_wait_dscnt 0x0
	v_add_f64_e32 v[8:9], v[10:11], v[8:9]
	ds_store_b64 v1, v[8:9]
.LBB58_25:
	s_or_b32 exec_lo, exec_lo, s0
	s_delay_alu instid0(SALU_CYCLE_1)
	s_mov_b32 s0, exec_lo
	s_wait_dscnt 0x0
	s_barrier_signal -1
	s_barrier_wait -1
	v_cmpx_gt_u32_e32 30, v0
	s_cbranch_execz .LBB58_27
; %bb.26:
	ds_load_2addr_b64 v[8:11], v1 offset1:30
	s_wait_dscnt 0x0
	v_add_f64_e32 v[8:9], v[10:11], v[8:9]
	ds_store_b64 v1, v[8:9]
.LBB58_27:
	s_or_b32 exec_lo, exec_lo, s0
	s_delay_alu instid0(SALU_CYCLE_1)
	s_mov_b32 s0, exec_lo
	s_wait_dscnt 0x0
	v_cmpx_lt_u32_e32 14, v0
	s_xor_b32 s0, exec_lo, s0
; %bb.28:
                                        ; implicit-def: $vgpr1
; %bb.29:
	s_delay_alu instid0(SALU_CYCLE_1)
	s_and_not1_saveexec_b32 s0, s0
	s_cbranch_execz .LBB58_31
; %bb.30:
	ds_load_2addr_b64 v[6:9], v1 offset1:15
	s_wait_dscnt 0x0
	v_add_f64_e32 v[6:7], v[8:9], v[6:7]
	ds_store_b64 v1, v[6:7]
	s_wait_dscnt 0x0
	ds_load_b64 v[6:7], v1
.LBB58_31:
	s_or_b32 exec_lo, exec_lo, s0
	s_wait_dscnt 0x0
	v_mov_b64_e32 v[8:9], v[6:7]
.LBB58_32:
	v_cmp_gt_u32_e32 vcc_lo, 15, v0
	s_and_b32 exec_lo, exec_lo, vcc_lo
	s_cbranch_execz .LBB58_37
; %bb.33:
	s_wait_dscnt 0x0
	s_delay_alu instid0(VALU_DEP_2)
	v_mul_f64_e32 v[4:5], v[4:5], v[8:9]
	v_mad_u32 v0, s8, 15, v0
	s_mov_b32 s0, exec_lo
	v_cmpx_eq_f64_e32 0, v[2:3]
	s_xor_b32 s0, exec_lo, s0
	s_cbranch_execz .LBB58_35
; %bb.34:
	global_store_b64 v0, v[4:5], s[2:3] scale_offset
                                        ; implicit-def: $vgpr0
                                        ; implicit-def: $vgpr2_vgpr3
                                        ; implicit-def: $vgpr4_vgpr5
.LBB58_35:
	s_wait_xcnt 0x0
	s_and_not1_saveexec_b32 s0, s0
	s_cbranch_execz .LBB58_37
; %bb.36:
	global_load_b64 v[6:7], v0, s[2:3] scale_offset
	s_wait_loadcnt 0x0
	v_fmac_f64_e32 v[4:5], v[2:3], v[6:7]
	global_store_b64 v0, v[4:5], s[2:3] scale_offset
.LBB58_37:
	s_endpgm
	.section	.rodata,"a",@progbits
	.p2align	6, 0x0
	.amdhsa_kernel _ZN9rocsparseL22gebsrmvn_mxn_16_kernelILj105ELj15ELj7EdEEvi20rocsparse_direction_NS_24const_host_device_scalarIT2_EEPKiS6_PKS3_iiS8_S4_PS3_21rocsparse_index_base_b
		.amdhsa_group_segment_fixed_size 840
		.amdhsa_private_segment_fixed_size 0
		.amdhsa_kernarg_size 80
		.amdhsa_user_sgpr_count 2
		.amdhsa_user_sgpr_dispatch_ptr 0
		.amdhsa_user_sgpr_queue_ptr 0
		.amdhsa_user_sgpr_kernarg_segment_ptr 1
		.amdhsa_user_sgpr_dispatch_id 0
		.amdhsa_user_sgpr_kernarg_preload_length 0
		.amdhsa_user_sgpr_kernarg_preload_offset 0
		.amdhsa_user_sgpr_private_segment_size 0
		.amdhsa_wavefront_size32 1
		.amdhsa_uses_dynamic_stack 0
		.amdhsa_enable_private_segment 0
		.amdhsa_system_sgpr_workgroup_id_x 1
		.amdhsa_system_sgpr_workgroup_id_y 0
		.amdhsa_system_sgpr_workgroup_id_z 0
		.amdhsa_system_sgpr_workgroup_info 0
		.amdhsa_system_vgpr_workitem_id 0
		.amdhsa_next_free_vgpr 16
		.amdhsa_next_free_sgpr 16
		.amdhsa_named_barrier_count 0
		.amdhsa_reserve_vcc 1
		.amdhsa_float_round_mode_32 0
		.amdhsa_float_round_mode_16_64 0
		.amdhsa_float_denorm_mode_32 3
		.amdhsa_float_denorm_mode_16_64 3
		.amdhsa_fp16_overflow 0
		.amdhsa_memory_ordered 1
		.amdhsa_forward_progress 1
		.amdhsa_inst_pref_size 9
		.amdhsa_round_robin_scheduling 0
		.amdhsa_exception_fp_ieee_invalid_op 0
		.amdhsa_exception_fp_denorm_src 0
		.amdhsa_exception_fp_ieee_div_zero 0
		.amdhsa_exception_fp_ieee_overflow 0
		.amdhsa_exception_fp_ieee_underflow 0
		.amdhsa_exception_fp_ieee_inexact 0
		.amdhsa_exception_int_div_zero 0
	.end_amdhsa_kernel
	.section	.text._ZN9rocsparseL22gebsrmvn_mxn_16_kernelILj105ELj15ELj7EdEEvi20rocsparse_direction_NS_24const_host_device_scalarIT2_EEPKiS6_PKS3_iiS8_S4_PS3_21rocsparse_index_base_b,"axG",@progbits,_ZN9rocsparseL22gebsrmvn_mxn_16_kernelILj105ELj15ELj7EdEEvi20rocsparse_direction_NS_24const_host_device_scalarIT2_EEPKiS6_PKS3_iiS8_S4_PS3_21rocsparse_index_base_b,comdat
.Lfunc_end58:
	.size	_ZN9rocsparseL22gebsrmvn_mxn_16_kernelILj105ELj15ELj7EdEEvi20rocsparse_direction_NS_24const_host_device_scalarIT2_EEPKiS6_PKS3_iiS8_S4_PS3_21rocsparse_index_base_b, .Lfunc_end58-_ZN9rocsparseL22gebsrmvn_mxn_16_kernelILj105ELj15ELj7EdEEvi20rocsparse_direction_NS_24const_host_device_scalarIT2_EEPKiS6_PKS3_iiS8_S4_PS3_21rocsparse_index_base_b
                                        ; -- End function
	.set _ZN9rocsparseL22gebsrmvn_mxn_16_kernelILj105ELj15ELj7EdEEvi20rocsparse_direction_NS_24const_host_device_scalarIT2_EEPKiS6_PKS3_iiS8_S4_PS3_21rocsparse_index_base_b.num_vgpr, 16
	.set _ZN9rocsparseL22gebsrmvn_mxn_16_kernelILj105ELj15ELj7EdEEvi20rocsparse_direction_NS_24const_host_device_scalarIT2_EEPKiS6_PKS3_iiS8_S4_PS3_21rocsparse_index_base_b.num_agpr, 0
	.set _ZN9rocsparseL22gebsrmvn_mxn_16_kernelILj105ELj15ELj7EdEEvi20rocsparse_direction_NS_24const_host_device_scalarIT2_EEPKiS6_PKS3_iiS8_S4_PS3_21rocsparse_index_base_b.numbered_sgpr, 16
	.set _ZN9rocsparseL22gebsrmvn_mxn_16_kernelILj105ELj15ELj7EdEEvi20rocsparse_direction_NS_24const_host_device_scalarIT2_EEPKiS6_PKS3_iiS8_S4_PS3_21rocsparse_index_base_b.num_named_barrier, 0
	.set _ZN9rocsparseL22gebsrmvn_mxn_16_kernelILj105ELj15ELj7EdEEvi20rocsparse_direction_NS_24const_host_device_scalarIT2_EEPKiS6_PKS3_iiS8_S4_PS3_21rocsparse_index_base_b.private_seg_size, 0
	.set _ZN9rocsparseL22gebsrmvn_mxn_16_kernelILj105ELj15ELj7EdEEvi20rocsparse_direction_NS_24const_host_device_scalarIT2_EEPKiS6_PKS3_iiS8_S4_PS3_21rocsparse_index_base_b.uses_vcc, 1
	.set _ZN9rocsparseL22gebsrmvn_mxn_16_kernelILj105ELj15ELj7EdEEvi20rocsparse_direction_NS_24const_host_device_scalarIT2_EEPKiS6_PKS3_iiS8_S4_PS3_21rocsparse_index_base_b.uses_flat_scratch, 0
	.set _ZN9rocsparseL22gebsrmvn_mxn_16_kernelILj105ELj15ELj7EdEEvi20rocsparse_direction_NS_24const_host_device_scalarIT2_EEPKiS6_PKS3_iiS8_S4_PS3_21rocsparse_index_base_b.has_dyn_sized_stack, 0
	.set _ZN9rocsparseL22gebsrmvn_mxn_16_kernelILj105ELj15ELj7EdEEvi20rocsparse_direction_NS_24const_host_device_scalarIT2_EEPKiS6_PKS3_iiS8_S4_PS3_21rocsparse_index_base_b.has_recursion, 0
	.set _ZN9rocsparseL22gebsrmvn_mxn_16_kernelILj105ELj15ELj7EdEEvi20rocsparse_direction_NS_24const_host_device_scalarIT2_EEPKiS6_PKS3_iiS8_S4_PS3_21rocsparse_index_base_b.has_indirect_call, 0
	.section	.AMDGPU.csdata,"",@progbits
; Kernel info:
; codeLenInByte = 1116
; TotalNumSgprs: 18
; NumVgprs: 16
; ScratchSize: 0
; MemoryBound: 0
; FloatMode: 240
; IeeeMode: 1
; LDSByteSize: 840 bytes/workgroup (compile time only)
; SGPRBlocks: 0
; VGPRBlocks: 0
; NumSGPRsForWavesPerEU: 18
; NumVGPRsForWavesPerEU: 16
; NamedBarCnt: 0
; Occupancy: 16
; WaveLimiterHint : 1
; COMPUTE_PGM_RSRC2:SCRATCH_EN: 0
; COMPUTE_PGM_RSRC2:USER_SGPR: 2
; COMPUTE_PGM_RSRC2:TRAP_HANDLER: 0
; COMPUTE_PGM_RSRC2:TGID_X_EN: 1
; COMPUTE_PGM_RSRC2:TGID_Y_EN: 0
; COMPUTE_PGM_RSRC2:TGID_Z_EN: 0
; COMPUTE_PGM_RSRC2:TIDIG_COMP_CNT: 0
	.section	.text._ZN9rocsparseL22gebsrmvn_mxn_16_kernelILj120ELj15ELj8EdEEvi20rocsparse_direction_NS_24const_host_device_scalarIT2_EEPKiS6_PKS3_iiS8_S4_PS3_21rocsparse_index_base_b,"axG",@progbits,_ZN9rocsparseL22gebsrmvn_mxn_16_kernelILj120ELj15ELj8EdEEvi20rocsparse_direction_NS_24const_host_device_scalarIT2_EEPKiS6_PKS3_iiS8_S4_PS3_21rocsparse_index_base_b,comdat
	.globl	_ZN9rocsparseL22gebsrmvn_mxn_16_kernelILj120ELj15ELj8EdEEvi20rocsparse_direction_NS_24const_host_device_scalarIT2_EEPKiS6_PKS3_iiS8_S4_PS3_21rocsparse_index_base_b ; -- Begin function _ZN9rocsparseL22gebsrmvn_mxn_16_kernelILj120ELj15ELj8EdEEvi20rocsparse_direction_NS_24const_host_device_scalarIT2_EEPKiS6_PKS3_iiS8_S4_PS3_21rocsparse_index_base_b
	.p2align	8
	.type	_ZN9rocsparseL22gebsrmvn_mxn_16_kernelILj120ELj15ELj8EdEEvi20rocsparse_direction_NS_24const_host_device_scalarIT2_EEPKiS6_PKS3_iiS8_S4_PS3_21rocsparse_index_base_b,@function
_ZN9rocsparseL22gebsrmvn_mxn_16_kernelILj120ELj15ELj8EdEEvi20rocsparse_direction_NS_24const_host_device_scalarIT2_EEPKiS6_PKS3_iiS8_S4_PS3_21rocsparse_index_base_b: ; @_ZN9rocsparseL22gebsrmvn_mxn_16_kernelILj120ELj15ELj8EdEEvi20rocsparse_direction_NS_24const_host_device_scalarIT2_EEPKiS6_PKS3_iiS8_S4_PS3_21rocsparse_index_base_b
; %bb.0:
	s_clause 0x2
	s_load_b64 s[10:11], s[0:1], 0x48
	s_load_b64 s[4:5], s[0:1], 0x8
	;; [unrolled: 1-line block ×3, first 2 shown]
	s_wait_kmcnt 0x0
	s_bitcmp1_b32 s11, 0
	v_mov_b64_e32 v[4:5], s[4:5]
	s_cselect_b32 s6, -1, 0
	s_delay_alu instid0(SALU_CYCLE_1)
	s_and_b32 vcc_lo, exec_lo, s6
	s_xor_b32 s6, s6, -1
	s_cbranch_vccnz .LBB59_2
; %bb.1:
	v_mov_b32_e32 v1, 0
	flat_load_b64 v[4:5], v1, s[4:5]
.LBB59_2:
	v_mov_b64_e32 v[2:3], s[2:3]
	s_and_not1_b32 vcc_lo, exec_lo, s6
	s_cbranch_vccnz .LBB59_4
; %bb.3:
	s_wait_xcnt 0x0
	v_mov_b32_e32 v1, 0
	flat_load_b64 v[2:3], v1, s[2:3]
.LBB59_4:
	s_wait_loadcnt_dscnt 0x0
	v_cmp_neq_f64_e32 vcc_lo, 0, v[4:5]
	s_delay_alu instid0(VALU_DEP_2) | instskip(SKIP_1) | instid1(SALU_CYCLE_1)
	v_cmp_neq_f64_e64 s2, 1.0, v[2:3]
	s_or_b32 s2, vcc_lo, s2
	s_and_saveexec_b32 s3, s2
	s_cbranch_execz .LBB59_37
; %bb.5:
	s_clause 0x1
	s_load_b32 s4, s[0:1], 0x4
	s_load_b64 s[2:3], s[0:1], 0x10
	v_and_b32_e32 v8, 7, v0
	s_delay_alu instid0(VALU_DEP_1) | instskip(SKIP_3) | instid1(SALU_CYCLE_1)
	v_mov_b32_e32 v1, v8
	s_wait_kmcnt 0x0
	s_cmp_lg_u32 s4, 1
	s_cselect_b32 s11, -1, 0
	s_and_b32 vcc_lo, exec_lo, s11
	s_cbranch_vccnz .LBB59_7
; %bb.6:
	v_mul_u32_u24_e32 v1, 0x1112, v0
	s_delay_alu instid0(VALU_DEP_1)
	v_bfe_u32 v1, v1, 16, 3
.LBB59_7:
	s_bfe_u32 s4, ttmp6, 0x4000c
	s_and_b32 s5, ttmp6, 15
	s_add_co_i32 s4, s4, 1
	s_getreg_b32 s6, hwreg(HW_REG_IB_STS2, 6, 4)
	s_mul_i32 s4, ttmp9, s4
	v_mov_b64_e32 v[6:7], 0
	s_add_co_i32 s5, s5, s4
	s_cmp_eq_u32 s6, 0
	s_cselect_b32 s8, ttmp9, s5
	s_delay_alu instid0(SALU_CYCLE_1) | instskip(NEXT) | instid1(SALU_CYCLE_1)
	s_ashr_i32 s9, s8, 31
	s_lshl_b64 s[4:5], s[8:9], 2
	s_delay_alu instid0(SALU_CYCLE_1)
	s_add_nc_u64 s[4:5], s[2:3], s[4:5]
	s_load_b64 s[14:15], s[4:5], 0x0
	s_load_b64 s[2:3], s[0:1], 0x40
	s_wait_kmcnt 0x0
	s_cmp_ge_i32 s14, s15
	s_cbranch_scc1 .LBB59_12
; %bb.8:
	s_clause 0x1
	s_load_b128 s[4:7], s[0:1], 0x18
	s_load_b64 s[12:13], s[0:1], 0x30
	v_mad_u32 v10, 0x78, s14, v0
	v_mul_u32_u24_e32 v9, 0x223, v0
	s_wait_xcnt 0x0
	s_mul_i32 s0, s10, 0x78
	v_mov_b64_e32 v[6:7], 0
	s_sub_co_i32 s1, s14, s10
	v_lshrrev_b32_e32 v9, 16, v9
	s_delay_alu instid0(VALU_DEP_4)
	v_subrev_nc_u32_e32 v10, s0, v10
	s_sub_co_i32 s0, s15, s10
	s_branch .LBB59_10
.LBB59_9:                               ;   in Loop: Header=BB59_10 Depth=1
	s_or_b32 exec_lo, exec_lo, s9
	v_add_nc_u32_e32 v10, 0x78, v10
	s_add_co_i32 s1, s1, 1
	s_delay_alu instid0(SALU_CYCLE_1)
	s_cmp_ge_i32 s1, s0
	s_cbranch_scc1 .LBB59_12
.LBB59_10:                              ; =>This Inner Loop Header: Depth=1
	s_delay_alu instid0(VALU_DEP_2) | instskip(SKIP_1) | instid1(VALU_DEP_1)
	v_add_nc_u32_e32 v11, s1, v9
	s_mov_b32 s9, exec_lo
	v_cmpx_gt_i32_e64 s0, v11
	s_cbranch_execz .LBB59_9
; %bb.11:                               ;   in Loop: Header=BB59_10 Depth=1
	s_wait_kmcnt 0x0
	global_load_b32 v11, v11, s[4:5] scale_offset
	s_wait_loadcnt 0x0
	v_subrev_nc_u32_e32 v11, s10, v11
	s_delay_alu instid0(VALU_DEP_1)
	v_lshl_or_b32 v11, v11, 3, v1
	global_load_b64 v[12:13], v10, s[6:7] scale_offset
	global_load_b64 v[14:15], v11, s[12:13] scale_offset
	s_wait_loadcnt 0x0
	v_fmac_f64_e32 v[6:7], v[12:13], v[14:15]
	s_branch .LBB59_9
.LBB59_12:
	v_lshlrev_b32_e32 v1, 3, v0
	s_and_b32 vcc_lo, exec_lo, s11
	ds_store_b64 v1, v[6:7]
	s_wait_dscnt 0x0
	s_barrier_signal -1
	s_barrier_wait -1
	s_cbranch_vccz .LBB59_22
; %bb.13:
	s_mov_b32 s0, exec_lo
	v_cmpx_gt_u32_e32 4, v8
	s_cbranch_execz .LBB59_15
; %bb.14:
	ds_load_2addr_b64 v[10:13], v1 offset1:4
	s_wait_dscnt 0x0
	v_add_f64_e32 v[10:11], v[12:13], v[10:11]
	ds_store_b64 v1, v[10:11]
.LBB59_15:
	s_or_b32 exec_lo, exec_lo, s0
	s_delay_alu instid0(SALU_CYCLE_1)
	s_mov_b32 s0, exec_lo
	s_wait_dscnt 0x0
	s_barrier_signal -1
	s_barrier_wait -1
	v_cmpx_gt_u32_e32 2, v8
	s_cbranch_execz .LBB59_17
; %bb.16:
	ds_load_2addr_b64 v[10:13], v1 offset1:2
	s_wait_dscnt 0x0
	v_add_f64_e32 v[10:11], v[12:13], v[10:11]
	ds_store_b64 v1, v[10:11]
.LBB59_17:
	s_or_b32 exec_lo, exec_lo, s0
	s_delay_alu instid0(SALU_CYCLE_1)
	s_mov_b32 s0, exec_lo
	s_wait_dscnt 0x0
	s_barrier_signal -1
	s_barrier_wait -1
	v_cmpx_eq_u32_e32 0, v8
	s_cbranch_execz .LBB59_19
; %bb.18:
	ds_load_2addr_b64 v[8:11], v1 offset1:1
	s_wait_dscnt 0x0
	v_add_f64_e32 v[8:9], v[10:11], v[8:9]
	ds_store_b64 v1, v[8:9]
.LBB59_19:
	s_or_b32 exec_lo, exec_lo, s0
	v_mov_b64_e32 v[8:9], v[6:7]
	s_mov_b32 s0, exec_lo
	s_wait_dscnt 0x0
	s_barrier_signal -1
	s_barrier_wait -1
	v_cmpx_gt_u32_e32 15, v0
; %bb.20:
	v_mad_u32_u24 v8, v0, 56, v1
	ds_load_b64 v[8:9], v8
; %bb.21:
	s_or_b32 exec_lo, exec_lo, s0
	s_branch .LBB59_32
.LBB59_22:
                                        ; implicit-def: $vgpr8_vgpr9
	s_cbranch_execz .LBB59_32
; %bb.23:
	s_mov_b32 s0, exec_lo
	v_cmpx_gt_u32_e32 60, v0
	s_cbranch_execz .LBB59_25
; %bb.24:
	s_wait_dscnt 0x0
	ds_load_2addr_b64 v[8:11], v1 offset1:60
	s_wait_dscnt 0x0
	v_add_f64_e32 v[8:9], v[10:11], v[8:9]
	ds_store_b64 v1, v[8:9]
.LBB59_25:
	s_or_b32 exec_lo, exec_lo, s0
	s_delay_alu instid0(SALU_CYCLE_1)
	s_mov_b32 s0, exec_lo
	s_wait_dscnt 0x0
	s_barrier_signal -1
	s_barrier_wait -1
	v_cmpx_gt_u32_e32 30, v0
	s_cbranch_execz .LBB59_27
; %bb.26:
	ds_load_2addr_b64 v[8:11], v1 offset1:30
	s_wait_dscnt 0x0
	v_add_f64_e32 v[8:9], v[10:11], v[8:9]
	ds_store_b64 v1, v[8:9]
.LBB59_27:
	s_or_b32 exec_lo, exec_lo, s0
	s_delay_alu instid0(SALU_CYCLE_1)
	s_mov_b32 s0, exec_lo
	s_wait_dscnt 0x0
	v_cmpx_lt_u32_e32 14, v0
	s_xor_b32 s0, exec_lo, s0
; %bb.28:
                                        ; implicit-def: $vgpr1
; %bb.29:
	s_delay_alu instid0(SALU_CYCLE_1)
	s_and_not1_saveexec_b32 s0, s0
	s_cbranch_execz .LBB59_31
; %bb.30:
	ds_load_2addr_b64 v[6:9], v1 offset1:15
	s_wait_dscnt 0x0
	v_add_f64_e32 v[6:7], v[8:9], v[6:7]
	ds_store_b64 v1, v[6:7]
	s_wait_dscnt 0x0
	ds_load_b64 v[6:7], v1
.LBB59_31:
	s_or_b32 exec_lo, exec_lo, s0
	s_wait_dscnt 0x0
	v_mov_b64_e32 v[8:9], v[6:7]
.LBB59_32:
	v_cmp_gt_u32_e32 vcc_lo, 15, v0
	s_and_b32 exec_lo, exec_lo, vcc_lo
	s_cbranch_execz .LBB59_37
; %bb.33:
	s_wait_dscnt 0x0
	s_delay_alu instid0(VALU_DEP_2)
	v_mul_f64_e32 v[4:5], v[4:5], v[8:9]
	v_mad_u32 v0, s8, 15, v0
	s_mov_b32 s0, exec_lo
	v_cmpx_eq_f64_e32 0, v[2:3]
	s_xor_b32 s0, exec_lo, s0
	s_cbranch_execz .LBB59_35
; %bb.34:
	global_store_b64 v0, v[4:5], s[2:3] scale_offset
                                        ; implicit-def: $vgpr0
                                        ; implicit-def: $vgpr2_vgpr3
                                        ; implicit-def: $vgpr4_vgpr5
.LBB59_35:
	s_wait_xcnt 0x0
	s_and_not1_saveexec_b32 s0, s0
	s_cbranch_execz .LBB59_37
; %bb.36:
	global_load_b64 v[6:7], v0, s[2:3] scale_offset
	s_wait_loadcnt 0x0
	v_fmac_f64_e32 v[4:5], v[2:3], v[6:7]
	global_store_b64 v0, v[4:5], s[2:3] scale_offset
.LBB59_37:
	s_endpgm
	.section	.rodata,"a",@progbits
	.p2align	6, 0x0
	.amdhsa_kernel _ZN9rocsparseL22gebsrmvn_mxn_16_kernelILj120ELj15ELj8EdEEvi20rocsparse_direction_NS_24const_host_device_scalarIT2_EEPKiS6_PKS3_iiS8_S4_PS3_21rocsparse_index_base_b
		.amdhsa_group_segment_fixed_size 960
		.amdhsa_private_segment_fixed_size 0
		.amdhsa_kernarg_size 80
		.amdhsa_user_sgpr_count 2
		.amdhsa_user_sgpr_dispatch_ptr 0
		.amdhsa_user_sgpr_queue_ptr 0
		.amdhsa_user_sgpr_kernarg_segment_ptr 1
		.amdhsa_user_sgpr_dispatch_id 0
		.amdhsa_user_sgpr_kernarg_preload_length 0
		.amdhsa_user_sgpr_kernarg_preload_offset 0
		.amdhsa_user_sgpr_private_segment_size 0
		.amdhsa_wavefront_size32 1
		.amdhsa_uses_dynamic_stack 0
		.amdhsa_enable_private_segment 0
		.amdhsa_system_sgpr_workgroup_id_x 1
		.amdhsa_system_sgpr_workgroup_id_y 0
		.amdhsa_system_sgpr_workgroup_id_z 0
		.amdhsa_system_sgpr_workgroup_info 0
		.amdhsa_system_vgpr_workitem_id 0
		.amdhsa_next_free_vgpr 16
		.amdhsa_next_free_sgpr 16
		.amdhsa_named_barrier_count 0
		.amdhsa_reserve_vcc 1
		.amdhsa_float_round_mode_32 0
		.amdhsa_float_round_mode_16_64 0
		.amdhsa_float_denorm_mode_32 3
		.amdhsa_float_denorm_mode_16_64 3
		.amdhsa_fp16_overflow 0
		.amdhsa_memory_ordered 1
		.amdhsa_forward_progress 1
		.amdhsa_inst_pref_size 9
		.amdhsa_round_robin_scheduling 0
		.amdhsa_exception_fp_ieee_invalid_op 0
		.amdhsa_exception_fp_denorm_src 0
		.amdhsa_exception_fp_ieee_div_zero 0
		.amdhsa_exception_fp_ieee_overflow 0
		.amdhsa_exception_fp_ieee_underflow 0
		.amdhsa_exception_fp_ieee_inexact 0
		.amdhsa_exception_int_div_zero 0
	.end_amdhsa_kernel
	.section	.text._ZN9rocsparseL22gebsrmvn_mxn_16_kernelILj120ELj15ELj8EdEEvi20rocsparse_direction_NS_24const_host_device_scalarIT2_EEPKiS6_PKS3_iiS8_S4_PS3_21rocsparse_index_base_b,"axG",@progbits,_ZN9rocsparseL22gebsrmvn_mxn_16_kernelILj120ELj15ELj8EdEEvi20rocsparse_direction_NS_24const_host_device_scalarIT2_EEPKiS6_PKS3_iiS8_S4_PS3_21rocsparse_index_base_b,comdat
.Lfunc_end59:
	.size	_ZN9rocsparseL22gebsrmvn_mxn_16_kernelILj120ELj15ELj8EdEEvi20rocsparse_direction_NS_24const_host_device_scalarIT2_EEPKiS6_PKS3_iiS8_S4_PS3_21rocsparse_index_base_b, .Lfunc_end59-_ZN9rocsparseL22gebsrmvn_mxn_16_kernelILj120ELj15ELj8EdEEvi20rocsparse_direction_NS_24const_host_device_scalarIT2_EEPKiS6_PKS3_iiS8_S4_PS3_21rocsparse_index_base_b
                                        ; -- End function
	.set _ZN9rocsparseL22gebsrmvn_mxn_16_kernelILj120ELj15ELj8EdEEvi20rocsparse_direction_NS_24const_host_device_scalarIT2_EEPKiS6_PKS3_iiS8_S4_PS3_21rocsparse_index_base_b.num_vgpr, 16
	.set _ZN9rocsparseL22gebsrmvn_mxn_16_kernelILj120ELj15ELj8EdEEvi20rocsparse_direction_NS_24const_host_device_scalarIT2_EEPKiS6_PKS3_iiS8_S4_PS3_21rocsparse_index_base_b.num_agpr, 0
	.set _ZN9rocsparseL22gebsrmvn_mxn_16_kernelILj120ELj15ELj8EdEEvi20rocsparse_direction_NS_24const_host_device_scalarIT2_EEPKiS6_PKS3_iiS8_S4_PS3_21rocsparse_index_base_b.numbered_sgpr, 16
	.set _ZN9rocsparseL22gebsrmvn_mxn_16_kernelILj120ELj15ELj8EdEEvi20rocsparse_direction_NS_24const_host_device_scalarIT2_EEPKiS6_PKS3_iiS8_S4_PS3_21rocsparse_index_base_b.num_named_barrier, 0
	.set _ZN9rocsparseL22gebsrmvn_mxn_16_kernelILj120ELj15ELj8EdEEvi20rocsparse_direction_NS_24const_host_device_scalarIT2_EEPKiS6_PKS3_iiS8_S4_PS3_21rocsparse_index_base_b.private_seg_size, 0
	.set _ZN9rocsparseL22gebsrmvn_mxn_16_kernelILj120ELj15ELj8EdEEvi20rocsparse_direction_NS_24const_host_device_scalarIT2_EEPKiS6_PKS3_iiS8_S4_PS3_21rocsparse_index_base_b.uses_vcc, 1
	.set _ZN9rocsparseL22gebsrmvn_mxn_16_kernelILj120ELj15ELj8EdEEvi20rocsparse_direction_NS_24const_host_device_scalarIT2_EEPKiS6_PKS3_iiS8_S4_PS3_21rocsparse_index_base_b.uses_flat_scratch, 0
	.set _ZN9rocsparseL22gebsrmvn_mxn_16_kernelILj120ELj15ELj8EdEEvi20rocsparse_direction_NS_24const_host_device_scalarIT2_EEPKiS6_PKS3_iiS8_S4_PS3_21rocsparse_index_base_b.has_dyn_sized_stack, 0
	.set _ZN9rocsparseL22gebsrmvn_mxn_16_kernelILj120ELj15ELj8EdEEvi20rocsparse_direction_NS_24const_host_device_scalarIT2_EEPKiS6_PKS3_iiS8_S4_PS3_21rocsparse_index_base_b.has_recursion, 0
	.set _ZN9rocsparseL22gebsrmvn_mxn_16_kernelILj120ELj15ELj8EdEEvi20rocsparse_direction_NS_24const_host_device_scalarIT2_EEPKiS6_PKS3_iiS8_S4_PS3_21rocsparse_index_base_b.has_indirect_call, 0
	.section	.AMDGPU.csdata,"",@progbits
; Kernel info:
; codeLenInByte = 1028
; TotalNumSgprs: 18
; NumVgprs: 16
; ScratchSize: 0
; MemoryBound: 0
; FloatMode: 240
; IeeeMode: 1
; LDSByteSize: 960 bytes/workgroup (compile time only)
; SGPRBlocks: 0
; VGPRBlocks: 0
; NumSGPRsForWavesPerEU: 18
; NumVGPRsForWavesPerEU: 16
; NamedBarCnt: 0
; Occupancy: 16
; WaveLimiterHint : 1
; COMPUTE_PGM_RSRC2:SCRATCH_EN: 0
; COMPUTE_PGM_RSRC2:USER_SGPR: 2
; COMPUTE_PGM_RSRC2:TRAP_HANDLER: 0
; COMPUTE_PGM_RSRC2:TGID_X_EN: 1
; COMPUTE_PGM_RSRC2:TGID_Y_EN: 0
; COMPUTE_PGM_RSRC2:TGID_Z_EN: 0
; COMPUTE_PGM_RSRC2:TIDIG_COMP_CNT: 0
	.section	.text._ZN9rocsparseL22gebsrmvn_mxn_16_kernelILj64ELj16ELj1EdEEvi20rocsparse_direction_NS_24const_host_device_scalarIT2_EEPKiS6_PKS3_iiS8_S4_PS3_21rocsparse_index_base_b,"axG",@progbits,_ZN9rocsparseL22gebsrmvn_mxn_16_kernelILj64ELj16ELj1EdEEvi20rocsparse_direction_NS_24const_host_device_scalarIT2_EEPKiS6_PKS3_iiS8_S4_PS3_21rocsparse_index_base_b,comdat
	.globl	_ZN9rocsparseL22gebsrmvn_mxn_16_kernelILj64ELj16ELj1EdEEvi20rocsparse_direction_NS_24const_host_device_scalarIT2_EEPKiS6_PKS3_iiS8_S4_PS3_21rocsparse_index_base_b ; -- Begin function _ZN9rocsparseL22gebsrmvn_mxn_16_kernelILj64ELj16ELj1EdEEvi20rocsparse_direction_NS_24const_host_device_scalarIT2_EEPKiS6_PKS3_iiS8_S4_PS3_21rocsparse_index_base_b
	.p2align	8
	.type	_ZN9rocsparseL22gebsrmvn_mxn_16_kernelILj64ELj16ELj1EdEEvi20rocsparse_direction_NS_24const_host_device_scalarIT2_EEPKiS6_PKS3_iiS8_S4_PS3_21rocsparse_index_base_b,@function
_ZN9rocsparseL22gebsrmvn_mxn_16_kernelILj64ELj16ELj1EdEEvi20rocsparse_direction_NS_24const_host_device_scalarIT2_EEPKiS6_PKS3_iiS8_S4_PS3_21rocsparse_index_base_b: ; @_ZN9rocsparseL22gebsrmvn_mxn_16_kernelILj64ELj16ELj1EdEEvi20rocsparse_direction_NS_24const_host_device_scalarIT2_EEPKiS6_PKS3_iiS8_S4_PS3_21rocsparse_index_base_b
; %bb.0:
	s_clause 0x2
	s_load_b64 s[10:11], s[0:1], 0x48
	s_load_b64 s[4:5], s[0:1], 0x8
	;; [unrolled: 1-line block ×3, first 2 shown]
	s_wait_kmcnt 0x0
	s_bitcmp1_b32 s11, 0
	v_mov_b64_e32 v[4:5], s[4:5]
	s_cselect_b32 s6, -1, 0
	s_delay_alu instid0(SALU_CYCLE_1)
	s_and_b32 vcc_lo, exec_lo, s6
	s_xor_b32 s6, s6, -1
	s_cbranch_vccnz .LBB60_2
; %bb.1:
	v_mov_b32_e32 v1, 0
	flat_load_b64 v[4:5], v1, s[4:5]
.LBB60_2:
	v_mov_b64_e32 v[2:3], s[2:3]
	s_and_not1_b32 vcc_lo, exec_lo, s6
	s_cbranch_vccnz .LBB60_4
; %bb.3:
	s_wait_xcnt 0x0
	v_mov_b32_e32 v1, 0
	flat_load_b64 v[2:3], v1, s[2:3]
.LBB60_4:
	s_wait_loadcnt_dscnt 0x0
	v_cmp_neq_f64_e32 vcc_lo, 0, v[4:5]
	s_delay_alu instid0(VALU_DEP_2) | instskip(SKIP_1) | instid1(SALU_CYCLE_1)
	v_cmp_neq_f64_e64 s2, 1.0, v[2:3]
	s_or_b32 s2, vcc_lo, s2
	s_and_saveexec_b32 s3, s2
	s_cbranch_execz .LBB60_21
; %bb.5:
	s_load_b64 s[2:3], s[0:1], 0x10
	s_bfe_u32 s4, ttmp6, 0x4000c
	s_and_b32 s5, ttmp6, 15
	s_add_co_i32 s4, s4, 1
	s_getreg_b32 s6, hwreg(HW_REG_IB_STS2, 6, 4)
	s_mul_i32 s4, ttmp9, s4
	s_delay_alu instid0(SALU_CYCLE_1) | instskip(SKIP_2) | instid1(SALU_CYCLE_1)
	s_add_co_i32 s5, s5, s4
	s_cmp_eq_u32 s6, 0
	s_cselect_b32 s8, ttmp9, s5
	s_ashr_i32 s9, s8, 31
	s_delay_alu instid0(SALU_CYCLE_1)
	s_lshl_b64 s[4:5], s[8:9], 2
	s_wait_kmcnt 0x0
	s_add_nc_u64 s[2:3], s[2:3], s[4:5]
	s_mov_b32 s4, 0
	s_load_b64 s[14:15], s[2:3], 0x0
	s_wait_kmcnt 0x0
	s_cmp_lt_i32 s14, s15
	s_cbranch_scc0 .LBB60_7
; %bb.6:
	s_mov_b32 s4, -1
.LBB60_7:
	s_load_b64 s[2:3], s[0:1], 0x40
	v_mov_b64_e32 v[6:7], 0
	s_and_not1_b32 vcc_lo, exec_lo, s4
	s_cbranch_vccnz .LBB60_12
; %bb.8:
	s_clause 0x1
	s_load_b128 s[4:7], s[0:1], 0x18
	s_load_b64 s[12:13], s[0:1], 0x30
	v_lshl_add_u32 v8, s14, 4, v0
	s_wait_xcnt 0x0
	s_lshl_b32 s0, s10, 4
	v_mov_b64_e32 v[6:7], 0
	v_lshrrev_b32_e32 v1, 4, v0
	s_sub_co_i32 s1, s14, s10
	v_subrev_nc_u32_e32 v8, s0, v8
	s_sub_co_i32 s0, s15, s10
	s_branch .LBB60_10
.LBB60_9:                               ;   in Loop: Header=BB60_10 Depth=1
	s_or_b32 exec_lo, exec_lo, s9
	v_add_nc_u32_e32 v8, 64, v8
	s_add_co_i32 s1, s1, 4
	s_delay_alu instid0(SALU_CYCLE_1)
	s_cmp_ge_i32 s1, s0
	s_cbranch_scc1 .LBB60_12
.LBB60_10:                              ; =>This Inner Loop Header: Depth=1
	v_add_nc_u32_e32 v9, s1, v1
	s_mov_b32 s9, exec_lo
	s_delay_alu instid0(VALU_DEP_1)
	v_cmpx_gt_i32_e64 s0, v9
	s_cbranch_execz .LBB60_9
; %bb.11:                               ;   in Loop: Header=BB60_10 Depth=1
	s_wait_kmcnt 0x0
	global_load_b32 v9, v9, s[4:5] scale_offset
	s_wait_loadcnt 0x0
	v_subrev_nc_u32_e32 v9, s10, v9
	global_load_b64 v[10:11], v8, s[6:7] scale_offset
	global_load_b64 v[12:13], v9, s[12:13] scale_offset
	s_wait_loadcnt 0x0
	v_fmac_f64_e32 v[6:7], v[10:11], v[12:13]
	s_branch .LBB60_9
.LBB60_12:
	v_lshlrev_b32_e32 v1, 3, v0
	s_wait_xcnt 0x0
	s_mov_b32 s0, exec_lo
	ds_store_b64 v1, v[6:7]
	s_wait_dscnt 0x0
	s_barrier_signal -1
	s_barrier_wait -1
	v_cmpx_gt_u32_e32 32, v0
	s_cbranch_execz .LBB60_14
; %bb.13:
	ds_load_2addr_b64 v[6:9], v1 offset1:32
	s_wait_dscnt 0x0
	v_add_f64_e32 v[6:7], v[8:9], v[6:7]
	ds_store_b64 v1, v[6:7]
.LBB60_14:
	s_or_b32 exec_lo, exec_lo, s0
	v_cmp_gt_u32_e32 vcc_lo, 16, v0
	s_wait_dscnt 0x0
	s_barrier_signal -1
	s_barrier_wait -1
	s_and_saveexec_b32 s0, vcc_lo
	s_cbranch_execz .LBB60_16
; %bb.15:
	ds_load_2addr_b64 v[6:9], v1 offset1:16
	s_wait_dscnt 0x0
	v_add_f64_e32 v[6:7], v[8:9], v[6:7]
	ds_store_b64 v1, v[6:7]
.LBB60_16:
	s_or_b32 exec_lo, exec_lo, s0
	s_wait_dscnt 0x0
	s_barrier_signal -1
	s_barrier_wait -1
	s_and_b32 exec_lo, exec_lo, vcc_lo
	s_cbranch_execz .LBB60_21
; %bb.17:
	ds_load_b64 v[6:7], v1
	v_lshl_or_b32 v0, s8, 4, v0
	s_mov_b32 s0, exec_lo
	s_wait_dscnt 0x0
	v_mul_f64_e32 v[4:5], v[4:5], v[6:7]
	v_cmpx_eq_f64_e32 0, v[2:3]
	s_xor_b32 s0, exec_lo, s0
	s_cbranch_execz .LBB60_19
; %bb.18:
	s_wait_kmcnt 0x0
	global_store_b64 v0, v[4:5], s[2:3] scale_offset
                                        ; implicit-def: $vgpr0
                                        ; implicit-def: $vgpr2_vgpr3
                                        ; implicit-def: $vgpr4_vgpr5
.LBB60_19:
	s_wait_xcnt 0x0
	s_and_not1_saveexec_b32 s0, s0
	s_cbranch_execz .LBB60_21
; %bb.20:
	s_wait_kmcnt 0x0
	global_load_b64 v[6:7], v0, s[2:3] scale_offset
	s_wait_loadcnt 0x0
	v_fmac_f64_e32 v[4:5], v[2:3], v[6:7]
	global_store_b64 v0, v[4:5], s[2:3] scale_offset
.LBB60_21:
	s_endpgm
	.section	.rodata,"a",@progbits
	.p2align	6, 0x0
	.amdhsa_kernel _ZN9rocsparseL22gebsrmvn_mxn_16_kernelILj64ELj16ELj1EdEEvi20rocsparse_direction_NS_24const_host_device_scalarIT2_EEPKiS6_PKS3_iiS8_S4_PS3_21rocsparse_index_base_b
		.amdhsa_group_segment_fixed_size 512
		.amdhsa_private_segment_fixed_size 0
		.amdhsa_kernarg_size 80
		.amdhsa_user_sgpr_count 2
		.amdhsa_user_sgpr_dispatch_ptr 0
		.amdhsa_user_sgpr_queue_ptr 0
		.amdhsa_user_sgpr_kernarg_segment_ptr 1
		.amdhsa_user_sgpr_dispatch_id 0
		.amdhsa_user_sgpr_kernarg_preload_length 0
		.amdhsa_user_sgpr_kernarg_preload_offset 0
		.amdhsa_user_sgpr_private_segment_size 0
		.amdhsa_wavefront_size32 1
		.amdhsa_uses_dynamic_stack 0
		.amdhsa_enable_private_segment 0
		.amdhsa_system_sgpr_workgroup_id_x 1
		.amdhsa_system_sgpr_workgroup_id_y 0
		.amdhsa_system_sgpr_workgroup_id_z 0
		.amdhsa_system_sgpr_workgroup_info 0
		.amdhsa_system_vgpr_workitem_id 0
		.amdhsa_next_free_vgpr 14
		.amdhsa_next_free_sgpr 16
		.amdhsa_named_barrier_count 0
		.amdhsa_reserve_vcc 1
		.amdhsa_float_round_mode_32 0
		.amdhsa_float_round_mode_16_64 0
		.amdhsa_float_denorm_mode_32 3
		.amdhsa_float_denorm_mode_16_64 3
		.amdhsa_fp16_overflow 0
		.amdhsa_memory_ordered 1
		.amdhsa_forward_progress 1
		.amdhsa_inst_pref_size 6
		.amdhsa_round_robin_scheduling 0
		.amdhsa_exception_fp_ieee_invalid_op 0
		.amdhsa_exception_fp_denorm_src 0
		.amdhsa_exception_fp_ieee_div_zero 0
		.amdhsa_exception_fp_ieee_overflow 0
		.amdhsa_exception_fp_ieee_underflow 0
		.amdhsa_exception_fp_ieee_inexact 0
		.amdhsa_exception_int_div_zero 0
	.end_amdhsa_kernel
	.section	.text._ZN9rocsparseL22gebsrmvn_mxn_16_kernelILj64ELj16ELj1EdEEvi20rocsparse_direction_NS_24const_host_device_scalarIT2_EEPKiS6_PKS3_iiS8_S4_PS3_21rocsparse_index_base_b,"axG",@progbits,_ZN9rocsparseL22gebsrmvn_mxn_16_kernelILj64ELj16ELj1EdEEvi20rocsparse_direction_NS_24const_host_device_scalarIT2_EEPKiS6_PKS3_iiS8_S4_PS3_21rocsparse_index_base_b,comdat
.Lfunc_end60:
	.size	_ZN9rocsparseL22gebsrmvn_mxn_16_kernelILj64ELj16ELj1EdEEvi20rocsparse_direction_NS_24const_host_device_scalarIT2_EEPKiS6_PKS3_iiS8_S4_PS3_21rocsparse_index_base_b, .Lfunc_end60-_ZN9rocsparseL22gebsrmvn_mxn_16_kernelILj64ELj16ELj1EdEEvi20rocsparse_direction_NS_24const_host_device_scalarIT2_EEPKiS6_PKS3_iiS8_S4_PS3_21rocsparse_index_base_b
                                        ; -- End function
	.set _ZN9rocsparseL22gebsrmvn_mxn_16_kernelILj64ELj16ELj1EdEEvi20rocsparse_direction_NS_24const_host_device_scalarIT2_EEPKiS6_PKS3_iiS8_S4_PS3_21rocsparse_index_base_b.num_vgpr, 14
	.set _ZN9rocsparseL22gebsrmvn_mxn_16_kernelILj64ELj16ELj1EdEEvi20rocsparse_direction_NS_24const_host_device_scalarIT2_EEPKiS6_PKS3_iiS8_S4_PS3_21rocsparse_index_base_b.num_agpr, 0
	.set _ZN9rocsparseL22gebsrmvn_mxn_16_kernelILj64ELj16ELj1EdEEvi20rocsparse_direction_NS_24const_host_device_scalarIT2_EEPKiS6_PKS3_iiS8_S4_PS3_21rocsparse_index_base_b.numbered_sgpr, 16
	.set _ZN9rocsparseL22gebsrmvn_mxn_16_kernelILj64ELj16ELj1EdEEvi20rocsparse_direction_NS_24const_host_device_scalarIT2_EEPKiS6_PKS3_iiS8_S4_PS3_21rocsparse_index_base_b.num_named_barrier, 0
	.set _ZN9rocsparseL22gebsrmvn_mxn_16_kernelILj64ELj16ELj1EdEEvi20rocsparse_direction_NS_24const_host_device_scalarIT2_EEPKiS6_PKS3_iiS8_S4_PS3_21rocsparse_index_base_b.private_seg_size, 0
	.set _ZN9rocsparseL22gebsrmvn_mxn_16_kernelILj64ELj16ELj1EdEEvi20rocsparse_direction_NS_24const_host_device_scalarIT2_EEPKiS6_PKS3_iiS8_S4_PS3_21rocsparse_index_base_b.uses_vcc, 1
	.set _ZN9rocsparseL22gebsrmvn_mxn_16_kernelILj64ELj16ELj1EdEEvi20rocsparse_direction_NS_24const_host_device_scalarIT2_EEPKiS6_PKS3_iiS8_S4_PS3_21rocsparse_index_base_b.uses_flat_scratch, 0
	.set _ZN9rocsparseL22gebsrmvn_mxn_16_kernelILj64ELj16ELj1EdEEvi20rocsparse_direction_NS_24const_host_device_scalarIT2_EEPKiS6_PKS3_iiS8_S4_PS3_21rocsparse_index_base_b.has_dyn_sized_stack, 0
	.set _ZN9rocsparseL22gebsrmvn_mxn_16_kernelILj64ELj16ELj1EdEEvi20rocsparse_direction_NS_24const_host_device_scalarIT2_EEPKiS6_PKS3_iiS8_S4_PS3_21rocsparse_index_base_b.has_recursion, 0
	.set _ZN9rocsparseL22gebsrmvn_mxn_16_kernelILj64ELj16ELj1EdEEvi20rocsparse_direction_NS_24const_host_device_scalarIT2_EEPKiS6_PKS3_iiS8_S4_PS3_21rocsparse_index_base_b.has_indirect_call, 0
	.section	.AMDGPU.csdata,"",@progbits
; Kernel info:
; codeLenInByte = 672
; TotalNumSgprs: 18
; NumVgprs: 14
; ScratchSize: 0
; MemoryBound: 0
; FloatMode: 240
; IeeeMode: 1
; LDSByteSize: 512 bytes/workgroup (compile time only)
; SGPRBlocks: 0
; VGPRBlocks: 0
; NumSGPRsForWavesPerEU: 18
; NumVGPRsForWavesPerEU: 14
; NamedBarCnt: 0
; Occupancy: 16
; WaveLimiterHint : 1
; COMPUTE_PGM_RSRC2:SCRATCH_EN: 0
; COMPUTE_PGM_RSRC2:USER_SGPR: 2
; COMPUTE_PGM_RSRC2:TRAP_HANDLER: 0
; COMPUTE_PGM_RSRC2:TGID_X_EN: 1
; COMPUTE_PGM_RSRC2:TGID_Y_EN: 0
; COMPUTE_PGM_RSRC2:TGID_Z_EN: 0
; COMPUTE_PGM_RSRC2:TIDIG_COMP_CNT: 0
	.section	.text._ZN9rocsparseL22gebsrmvn_mxn_16_kernelILj64ELj16ELj2EdEEvi20rocsparse_direction_NS_24const_host_device_scalarIT2_EEPKiS6_PKS3_iiS8_S4_PS3_21rocsparse_index_base_b,"axG",@progbits,_ZN9rocsparseL22gebsrmvn_mxn_16_kernelILj64ELj16ELj2EdEEvi20rocsparse_direction_NS_24const_host_device_scalarIT2_EEPKiS6_PKS3_iiS8_S4_PS3_21rocsparse_index_base_b,comdat
	.globl	_ZN9rocsparseL22gebsrmvn_mxn_16_kernelILj64ELj16ELj2EdEEvi20rocsparse_direction_NS_24const_host_device_scalarIT2_EEPKiS6_PKS3_iiS8_S4_PS3_21rocsparse_index_base_b ; -- Begin function _ZN9rocsparseL22gebsrmvn_mxn_16_kernelILj64ELj16ELj2EdEEvi20rocsparse_direction_NS_24const_host_device_scalarIT2_EEPKiS6_PKS3_iiS8_S4_PS3_21rocsparse_index_base_b
	.p2align	8
	.type	_ZN9rocsparseL22gebsrmvn_mxn_16_kernelILj64ELj16ELj2EdEEvi20rocsparse_direction_NS_24const_host_device_scalarIT2_EEPKiS6_PKS3_iiS8_S4_PS3_21rocsparse_index_base_b,@function
_ZN9rocsparseL22gebsrmvn_mxn_16_kernelILj64ELj16ELj2EdEEvi20rocsparse_direction_NS_24const_host_device_scalarIT2_EEPKiS6_PKS3_iiS8_S4_PS3_21rocsparse_index_base_b: ; @_ZN9rocsparseL22gebsrmvn_mxn_16_kernelILj64ELj16ELj2EdEEvi20rocsparse_direction_NS_24const_host_device_scalarIT2_EEPKiS6_PKS3_iiS8_S4_PS3_21rocsparse_index_base_b
; %bb.0:
	s_clause 0x2
	s_load_b64 s[10:11], s[0:1], 0x48
	s_load_b64 s[4:5], s[0:1], 0x8
	;; [unrolled: 1-line block ×3, first 2 shown]
	s_wait_kmcnt 0x0
	s_bitcmp1_b32 s11, 0
	v_mov_b64_e32 v[4:5], s[4:5]
	s_cselect_b32 s6, -1, 0
	s_delay_alu instid0(SALU_CYCLE_1)
	s_and_b32 vcc_lo, exec_lo, s6
	s_xor_b32 s6, s6, -1
	s_cbranch_vccnz .LBB61_2
; %bb.1:
	v_mov_b32_e32 v1, 0
	flat_load_b64 v[4:5], v1, s[4:5]
.LBB61_2:
	v_mov_b64_e32 v[2:3], s[2:3]
	s_and_not1_b32 vcc_lo, exec_lo, s6
	s_cbranch_vccnz .LBB61_4
; %bb.3:
	s_wait_xcnt 0x0
	v_mov_b32_e32 v1, 0
	flat_load_b64 v[2:3], v1, s[2:3]
.LBB61_4:
	s_wait_loadcnt_dscnt 0x0
	v_cmp_neq_f64_e32 vcc_lo, 0, v[4:5]
	s_delay_alu instid0(VALU_DEP_2) | instskip(SKIP_1) | instid1(SALU_CYCLE_1)
	v_cmp_neq_f64_e64 s2, 1.0, v[2:3]
	s_or_b32 s2, vcc_lo, s2
	s_and_saveexec_b32 s3, s2
	s_cbranch_execz .LBB61_29
; %bb.5:
	s_clause 0x1
	s_load_b32 s4, s[0:1], 0x4
	s_load_b64 s[2:3], s[0:1], 0x10
	s_bfe_u32 s5, ttmp6, 0x4000c
	s_and_b32 s6, ttmp6, 15
	s_add_co_i32 s5, s5, 1
	s_getreg_b32 s7, hwreg(HW_REG_IB_STS2, 6, 4)
	s_mul_i32 s5, ttmp9, s5
	v_mov_b64_e32 v[6:7], 0
	s_add_co_i32 s6, s6, s5
	s_cmp_eq_u32 s7, 0
	v_and_b32_e32 v8, 1, v0
	s_cselect_b32 s8, ttmp9, s6
	s_wait_kmcnt 0x0
	s_cmp_eq_u32 s4, 1
	s_cselect_b32 vcc_lo, -1, 0
	s_cmp_lg_u32 s4, 1
	s_cselect_b32 s11, -1, 0
	s_ashr_i32 s9, s8, 31
	s_delay_alu instid0(SALU_CYCLE_1) | instskip(NEXT) | instid1(SALU_CYCLE_1)
	s_lshl_b64 s[4:5], s[8:9], 2
	s_add_nc_u64 s[4:5], s[2:3], s[4:5]
	s_load_b64 s[14:15], s[4:5], 0x0
	s_load_b64 s[2:3], s[0:1], 0x40
	s_wait_kmcnt 0x0
	s_cmp_ge_i32 s14, s15
	s_cbranch_scc1 .LBB61_10
; %bb.6:
	s_clause 0x1
	s_load_b128 s[4:7], s[0:1], 0x18
	s_load_b64 s[12:13], s[0:1], 0x30
	v_bfe_u32 v1, v0, 4, 1
	v_lshl_add_u32 v10, s14, 5, v0
	s_wait_xcnt 0x0
	s_lshl_b32 s0, s10, 5
	v_mov_b64_e32 v[6:7], 0
	v_dual_lshrrev_b32 v9, 5, v0 :: v_dual_cndmask_b32 v1, v8, v1, vcc_lo
	v_subrev_nc_u32_e32 v10, s0, v10
	s_sub_co_i32 s0, s15, s10
	s_sub_co_i32 s1, s14, s10
	s_branch .LBB61_8
.LBB61_7:                               ;   in Loop: Header=BB61_8 Depth=1
	s_or_b32 exec_lo, exec_lo, s9
	v_add_nc_u32_e32 v10, 64, v10
	s_add_co_i32 s1, s1, 2
	s_delay_alu instid0(SALU_CYCLE_1)
	s_cmp_ge_i32 s1, s0
	s_cbranch_scc1 .LBB61_10
.LBB61_8:                               ; =>This Inner Loop Header: Depth=1
	v_add_nc_u32_e32 v11, s1, v9
	s_mov_b32 s9, exec_lo
	s_delay_alu instid0(VALU_DEP_1)
	v_cmpx_gt_i32_e64 s0, v11
	s_cbranch_execz .LBB61_7
; %bb.9:                                ;   in Loop: Header=BB61_8 Depth=1
	s_wait_kmcnt 0x0
	global_load_b32 v11, v11, s[4:5] scale_offset
	s_wait_loadcnt 0x0
	v_subrev_nc_u32_e32 v11, s10, v11
	s_delay_alu instid0(VALU_DEP_1)
	v_lshl_or_b32 v11, v11, 1, v1
	global_load_b64 v[12:13], v10, s[6:7] scale_offset
	global_load_b64 v[14:15], v11, s[12:13] scale_offset
	s_wait_loadcnt 0x0
	v_fmac_f64_e32 v[6:7], v[12:13], v[14:15]
	s_branch .LBB61_7
.LBB61_10:
	v_lshlrev_b32_e32 v1, 3, v0
	s_mov_b32 s0, exec_lo
	ds_store_b64 v1, v[6:7]
	s_wait_dscnt 0x0
	s_barrier_signal -1
	s_barrier_wait -1
	v_cmpx_gt_u32_e32 32, v0
	s_cbranch_execz .LBB61_12
; %bb.11:
	ds_load_2addr_b64 v[10:13], v1 offset1:32
	s_wait_dscnt 0x0
	v_add_f64_e32 v[10:11], v[12:13], v[10:11]
	ds_store_b64 v1, v[10:11]
.LBB61_12:
	s_or_b32 exec_lo, exec_lo, s0
	s_delay_alu instid0(SALU_CYCLE_1)
	s_and_b32 vcc_lo, exec_lo, s11
	s_wait_dscnt 0x0
	s_barrier_signal -1
	s_barrier_wait -1
	s_cbranch_vccz .LBB61_18
; %bb.13:
	s_mov_b32 s0, exec_lo
	v_cmpx_eq_u32_e32 0, v8
	s_cbranch_execz .LBB61_15
; %bb.14:
	ds_load_2addr_b64 v[8:11], v1 offset1:1
	s_wait_dscnt 0x0
	v_add_f64_e32 v[8:9], v[10:11], v[8:9]
	ds_store_b64 v1, v[8:9]
.LBB61_15:
	s_or_b32 exec_lo, exec_lo, s0
	v_mov_b64_e32 v[8:9], v[6:7]
	s_mov_b32 s0, exec_lo
	s_wait_dscnt 0x0
	s_barrier_signal -1
	s_barrier_wait -1
	v_cmpx_gt_u32_e32 16, v0
; %bb.16:
	v_lshl_add_u32 v8, v0, 3, v1
	ds_load_b64 v[8:9], v8
; %bb.17:
	s_or_b32 exec_lo, exec_lo, s0
	s_branch .LBB61_24
.LBB61_18:
                                        ; implicit-def: $vgpr8_vgpr9
	s_cbranch_execz .LBB61_24
; %bb.19:
	s_mov_b32 s0, exec_lo
	v_cmpx_lt_u32_e32 15, v0
	s_xor_b32 s0, exec_lo, s0
	s_cbranch_execz .LBB61_21
; %bb.20:
	s_wait_dscnt 0x0
                                        ; implicit-def: $vgpr1
.LBB61_21:
	s_and_not1_saveexec_b32 s0, s0
	s_cbranch_execz .LBB61_23
; %bb.22:
	s_wait_dscnt 0x0
	ds_load_2addr_b64 v[6:9], v1 offset1:16
	s_wait_dscnt 0x0
	v_add_f64_e32 v[6:7], v[8:9], v[6:7]
	ds_store_b64 v1, v[6:7]
	s_wait_dscnt 0x0
	ds_load_b64 v[6:7], v1
.LBB61_23:
	s_or_b32 exec_lo, exec_lo, s0
	s_wait_dscnt 0x0
	v_mov_b64_e32 v[8:9], v[6:7]
.LBB61_24:
	v_cmp_gt_u32_e32 vcc_lo, 16, v0
	s_and_b32 exec_lo, exec_lo, vcc_lo
	s_cbranch_execz .LBB61_29
; %bb.25:
	s_wait_dscnt 0x0
	s_delay_alu instid0(VALU_DEP_2)
	v_mul_f64_e32 v[4:5], v[4:5], v[8:9]
	v_lshl_or_b32 v0, s8, 4, v0
	s_mov_b32 s0, exec_lo
	v_cmpx_eq_f64_e32 0, v[2:3]
	s_xor_b32 s0, exec_lo, s0
	s_cbranch_execz .LBB61_27
; %bb.26:
	global_store_b64 v0, v[4:5], s[2:3] scale_offset
                                        ; implicit-def: $vgpr0
                                        ; implicit-def: $vgpr2_vgpr3
                                        ; implicit-def: $vgpr4_vgpr5
.LBB61_27:
	s_wait_xcnt 0x0
	s_and_not1_saveexec_b32 s0, s0
	s_cbranch_execz .LBB61_29
; %bb.28:
	global_load_b64 v[6:7], v0, s[2:3] scale_offset
	s_wait_loadcnt 0x0
	v_fmac_f64_e32 v[4:5], v[2:3], v[6:7]
	global_store_b64 v0, v[4:5], s[2:3] scale_offset
.LBB61_29:
	s_endpgm
	.section	.rodata,"a",@progbits
	.p2align	6, 0x0
	.amdhsa_kernel _ZN9rocsparseL22gebsrmvn_mxn_16_kernelILj64ELj16ELj2EdEEvi20rocsparse_direction_NS_24const_host_device_scalarIT2_EEPKiS6_PKS3_iiS8_S4_PS3_21rocsparse_index_base_b
		.amdhsa_group_segment_fixed_size 512
		.amdhsa_private_segment_fixed_size 0
		.amdhsa_kernarg_size 80
		.amdhsa_user_sgpr_count 2
		.amdhsa_user_sgpr_dispatch_ptr 0
		.amdhsa_user_sgpr_queue_ptr 0
		.amdhsa_user_sgpr_kernarg_segment_ptr 1
		.amdhsa_user_sgpr_dispatch_id 0
		.amdhsa_user_sgpr_kernarg_preload_length 0
		.amdhsa_user_sgpr_kernarg_preload_offset 0
		.amdhsa_user_sgpr_private_segment_size 0
		.amdhsa_wavefront_size32 1
		.amdhsa_uses_dynamic_stack 0
		.amdhsa_enable_private_segment 0
		.amdhsa_system_sgpr_workgroup_id_x 1
		.amdhsa_system_sgpr_workgroup_id_y 0
		.amdhsa_system_sgpr_workgroup_id_z 0
		.amdhsa_system_sgpr_workgroup_info 0
		.amdhsa_system_vgpr_workitem_id 0
		.amdhsa_next_free_vgpr 16
		.amdhsa_next_free_sgpr 16
		.amdhsa_named_barrier_count 0
		.amdhsa_reserve_vcc 1
		.amdhsa_float_round_mode_32 0
		.amdhsa_float_round_mode_16_64 0
		.amdhsa_float_denorm_mode_32 3
		.amdhsa_float_denorm_mode_16_64 3
		.amdhsa_fp16_overflow 0
		.amdhsa_memory_ordered 1
		.amdhsa_forward_progress 1
		.amdhsa_inst_pref_size 7
		.amdhsa_round_robin_scheduling 0
		.amdhsa_exception_fp_ieee_invalid_op 0
		.amdhsa_exception_fp_denorm_src 0
		.amdhsa_exception_fp_ieee_div_zero 0
		.amdhsa_exception_fp_ieee_overflow 0
		.amdhsa_exception_fp_ieee_underflow 0
		.amdhsa_exception_fp_ieee_inexact 0
		.amdhsa_exception_int_div_zero 0
	.end_amdhsa_kernel
	.section	.text._ZN9rocsparseL22gebsrmvn_mxn_16_kernelILj64ELj16ELj2EdEEvi20rocsparse_direction_NS_24const_host_device_scalarIT2_EEPKiS6_PKS3_iiS8_S4_PS3_21rocsparse_index_base_b,"axG",@progbits,_ZN9rocsparseL22gebsrmvn_mxn_16_kernelILj64ELj16ELj2EdEEvi20rocsparse_direction_NS_24const_host_device_scalarIT2_EEPKiS6_PKS3_iiS8_S4_PS3_21rocsparse_index_base_b,comdat
.Lfunc_end61:
	.size	_ZN9rocsparseL22gebsrmvn_mxn_16_kernelILj64ELj16ELj2EdEEvi20rocsparse_direction_NS_24const_host_device_scalarIT2_EEPKiS6_PKS3_iiS8_S4_PS3_21rocsparse_index_base_b, .Lfunc_end61-_ZN9rocsparseL22gebsrmvn_mxn_16_kernelILj64ELj16ELj2EdEEvi20rocsparse_direction_NS_24const_host_device_scalarIT2_EEPKiS6_PKS3_iiS8_S4_PS3_21rocsparse_index_base_b
                                        ; -- End function
	.set _ZN9rocsparseL22gebsrmvn_mxn_16_kernelILj64ELj16ELj2EdEEvi20rocsparse_direction_NS_24const_host_device_scalarIT2_EEPKiS6_PKS3_iiS8_S4_PS3_21rocsparse_index_base_b.num_vgpr, 16
	.set _ZN9rocsparseL22gebsrmvn_mxn_16_kernelILj64ELj16ELj2EdEEvi20rocsparse_direction_NS_24const_host_device_scalarIT2_EEPKiS6_PKS3_iiS8_S4_PS3_21rocsparse_index_base_b.num_agpr, 0
	.set _ZN9rocsparseL22gebsrmvn_mxn_16_kernelILj64ELj16ELj2EdEEvi20rocsparse_direction_NS_24const_host_device_scalarIT2_EEPKiS6_PKS3_iiS8_S4_PS3_21rocsparse_index_base_b.numbered_sgpr, 16
	.set _ZN9rocsparseL22gebsrmvn_mxn_16_kernelILj64ELj16ELj2EdEEvi20rocsparse_direction_NS_24const_host_device_scalarIT2_EEPKiS6_PKS3_iiS8_S4_PS3_21rocsparse_index_base_b.num_named_barrier, 0
	.set _ZN9rocsparseL22gebsrmvn_mxn_16_kernelILj64ELj16ELj2EdEEvi20rocsparse_direction_NS_24const_host_device_scalarIT2_EEPKiS6_PKS3_iiS8_S4_PS3_21rocsparse_index_base_b.private_seg_size, 0
	.set _ZN9rocsparseL22gebsrmvn_mxn_16_kernelILj64ELj16ELj2EdEEvi20rocsparse_direction_NS_24const_host_device_scalarIT2_EEPKiS6_PKS3_iiS8_S4_PS3_21rocsparse_index_base_b.uses_vcc, 1
	.set _ZN9rocsparseL22gebsrmvn_mxn_16_kernelILj64ELj16ELj2EdEEvi20rocsparse_direction_NS_24const_host_device_scalarIT2_EEPKiS6_PKS3_iiS8_S4_PS3_21rocsparse_index_base_b.uses_flat_scratch, 0
	.set _ZN9rocsparseL22gebsrmvn_mxn_16_kernelILj64ELj16ELj2EdEEvi20rocsparse_direction_NS_24const_host_device_scalarIT2_EEPKiS6_PKS3_iiS8_S4_PS3_21rocsparse_index_base_b.has_dyn_sized_stack, 0
	.set _ZN9rocsparseL22gebsrmvn_mxn_16_kernelILj64ELj16ELj2EdEEvi20rocsparse_direction_NS_24const_host_device_scalarIT2_EEPKiS6_PKS3_iiS8_S4_PS3_21rocsparse_index_base_b.has_recursion, 0
	.set _ZN9rocsparseL22gebsrmvn_mxn_16_kernelILj64ELj16ELj2EdEEvi20rocsparse_direction_NS_24const_host_device_scalarIT2_EEPKiS6_PKS3_iiS8_S4_PS3_21rocsparse_index_base_b.has_indirect_call, 0
	.section	.AMDGPU.csdata,"",@progbits
; Kernel info:
; codeLenInByte = 832
; TotalNumSgprs: 18
; NumVgprs: 16
; ScratchSize: 0
; MemoryBound: 0
; FloatMode: 240
; IeeeMode: 1
; LDSByteSize: 512 bytes/workgroup (compile time only)
; SGPRBlocks: 0
; VGPRBlocks: 0
; NumSGPRsForWavesPerEU: 18
; NumVGPRsForWavesPerEU: 16
; NamedBarCnt: 0
; Occupancy: 16
; WaveLimiterHint : 1
; COMPUTE_PGM_RSRC2:SCRATCH_EN: 0
; COMPUTE_PGM_RSRC2:USER_SGPR: 2
; COMPUTE_PGM_RSRC2:TRAP_HANDLER: 0
; COMPUTE_PGM_RSRC2:TGID_X_EN: 1
; COMPUTE_PGM_RSRC2:TGID_Y_EN: 0
; COMPUTE_PGM_RSRC2:TGID_Z_EN: 0
; COMPUTE_PGM_RSRC2:TIDIG_COMP_CNT: 0
	.section	.text._ZN9rocsparseL22gebsrmvn_mxn_16_kernelILj48ELj16ELj3EdEEvi20rocsparse_direction_NS_24const_host_device_scalarIT2_EEPKiS6_PKS3_iiS8_S4_PS3_21rocsparse_index_base_b,"axG",@progbits,_ZN9rocsparseL22gebsrmvn_mxn_16_kernelILj48ELj16ELj3EdEEvi20rocsparse_direction_NS_24const_host_device_scalarIT2_EEPKiS6_PKS3_iiS8_S4_PS3_21rocsparse_index_base_b,comdat
	.globl	_ZN9rocsparseL22gebsrmvn_mxn_16_kernelILj48ELj16ELj3EdEEvi20rocsparse_direction_NS_24const_host_device_scalarIT2_EEPKiS6_PKS3_iiS8_S4_PS3_21rocsparse_index_base_b ; -- Begin function _ZN9rocsparseL22gebsrmvn_mxn_16_kernelILj48ELj16ELj3EdEEvi20rocsparse_direction_NS_24const_host_device_scalarIT2_EEPKiS6_PKS3_iiS8_S4_PS3_21rocsparse_index_base_b
	.p2align	8
	.type	_ZN9rocsparseL22gebsrmvn_mxn_16_kernelILj48ELj16ELj3EdEEvi20rocsparse_direction_NS_24const_host_device_scalarIT2_EEPKiS6_PKS3_iiS8_S4_PS3_21rocsparse_index_base_b,@function
_ZN9rocsparseL22gebsrmvn_mxn_16_kernelILj48ELj16ELj3EdEEvi20rocsparse_direction_NS_24const_host_device_scalarIT2_EEPKiS6_PKS3_iiS8_S4_PS3_21rocsparse_index_base_b: ; @_ZN9rocsparseL22gebsrmvn_mxn_16_kernelILj48ELj16ELj3EdEEvi20rocsparse_direction_NS_24const_host_device_scalarIT2_EEPKiS6_PKS3_iiS8_S4_PS3_21rocsparse_index_base_b
; %bb.0:
	s_clause 0x2
	s_load_b64 s[10:11], s[0:1], 0x48
	s_load_b64 s[4:5], s[0:1], 0x8
	;; [unrolled: 1-line block ×3, first 2 shown]
	s_wait_kmcnt 0x0
	s_bitcmp1_b32 s11, 0
	v_mov_b64_e32 v[4:5], s[4:5]
	s_cselect_b32 s6, -1, 0
	s_delay_alu instid0(SALU_CYCLE_1)
	s_and_b32 vcc_lo, exec_lo, s6
	s_xor_b32 s6, s6, -1
	s_cbranch_vccnz .LBB62_2
; %bb.1:
	v_mov_b32_e32 v1, 0
	flat_load_b64 v[4:5], v1, s[4:5]
.LBB62_2:
	v_mov_b64_e32 v[2:3], s[2:3]
	s_and_not1_b32 vcc_lo, exec_lo, s6
	s_cbranch_vccnz .LBB62_4
; %bb.3:
	s_wait_xcnt 0x0
	v_mov_b32_e32 v1, 0
	flat_load_b64 v[2:3], v1, s[2:3]
.LBB62_4:
	s_wait_loadcnt_dscnt 0x0
	v_cmp_neq_f64_e32 vcc_lo, 0, v[4:5]
	s_delay_alu instid0(VALU_DEP_2) | instskip(SKIP_1) | instid1(SALU_CYCLE_1)
	v_cmp_neq_f64_e64 s2, 1.0, v[2:3]
	s_or_b32 s2, vcc_lo, s2
	s_and_saveexec_b32 s3, s2
	s_cbranch_execz .LBB62_31
; %bb.5:
	s_clause 0x1
	s_load_b32 s4, s[0:1], 0x4
	s_load_b64 s[2:3], s[0:1], 0x10
	s_bfe_u32 s5, ttmp6, 0x4000c
	s_and_b32 s6, ttmp6, 15
	s_add_co_i32 s5, s5, 1
	s_getreg_b32 s7, hwreg(HW_REG_IB_STS2, 6, 4)
	s_mul_i32 s5, ttmp9, s5
	v_mul_u32_u24_e32 v1, 0x5556, v0
	s_add_co_i32 s6, s6, s5
	s_cmp_eq_u32 s7, 0
	v_mov_b64_e32 v[6:7], 0
	s_cselect_b32 s8, ttmp9, s6
	v_lshrrev_b32_e32 v1, 16, v1
	s_delay_alu instid0(VALU_DEP_1) | instskip(SKIP_2) | instid1(VALU_DEP_1)
	v_mul_lo_u16 v1, v1, 3
	s_wait_kmcnt 0x0
	s_cmp_eq_u32 s4, 1
	v_sub_nc_u16 v8, v0, v1
	s_cselect_b32 vcc_lo, -1, 0
	s_cmp_lg_u32 s4, 1
	s_cselect_b32 s11, -1, 0
	s_ashr_i32 s9, s8, 31
	s_delay_alu instid0(SALU_CYCLE_1) | instskip(NEXT) | instid1(SALU_CYCLE_1)
	s_lshl_b64 s[4:5], s[8:9], 2
	s_add_nc_u64 s[4:5], s[2:3], s[4:5]
	s_load_b64 s[14:15], s[4:5], 0x0
	s_load_b64 s[2:3], s[0:1], 0x40
	s_wait_kmcnt 0x0
	s_cmp_ge_i32 s14, s15
	s_cbranch_scc1 .LBB62_10
; %bb.6:
	v_lshrrev_b32_e32 v1, 4, v0
	s_clause 0x1
	s_load_b128 s[4:7], s[0:1], 0x18
	s_load_b64 s[12:13], s[0:1], 0x30
	v_mad_u32 v10, s14, 48, v0
	v_and_b32_e32 v7, 0xffff, v0
	v_and_b32_e32 v9, 0xffff, v8
	v_mul_lo_u16 v6, 0x56, v1
	s_wait_xcnt 0x0
	s_mul_i32 s0, s10, 48
	s_sub_co_i32 s1, s14, s10
	v_mul_u32_u24_e32 v11, 0x556, v7
	v_lshrrev_b16 v6, 8, v6
	v_subrev_nc_u32_e32 v10, s0, v10
	s_sub_co_i32 s0, s15, s10
	s_delay_alu instid0(VALU_DEP_2) | instskip(NEXT) | instid1(VALU_DEP_1)
	v_mul_lo_u16 v6, v6, 3
	v_sub_nc_u16 v1, v1, v6
	v_mov_b64_e32 v[6:7], 0
	s_delay_alu instid0(VALU_DEP_2) | instskip(NEXT) | instid1(VALU_DEP_1)
	v_and_b32_e32 v12, 0xff, v1
	v_dual_lshrrev_b32 v1, 16, v11 :: v_dual_cndmask_b32 v9, v9, v12, vcc_lo
	s_branch .LBB62_8
.LBB62_7:                               ;   in Loop: Header=BB62_8 Depth=1
	s_or_b32 exec_lo, exec_lo, s9
	v_add_nc_u32_e32 v10, 48, v10
	s_add_co_i32 s1, s1, 1
	s_delay_alu instid0(SALU_CYCLE_1)
	s_cmp_ge_i32 s1, s0
	s_cbranch_scc1 .LBB62_10
.LBB62_8:                               ; =>This Inner Loop Header: Depth=1
	s_delay_alu instid0(VALU_DEP_1) | instskip(SKIP_1) | instid1(VALU_DEP_1)
	v_add_nc_u32_e32 v11, s1, v1
	s_mov_b32 s9, exec_lo
	v_cmpx_gt_i32_e64 s0, v11
	s_cbranch_execz .LBB62_7
; %bb.9:                                ;   in Loop: Header=BB62_8 Depth=1
	s_wait_kmcnt 0x0
	global_load_b32 v11, v11, s[4:5] scale_offset
	s_wait_loadcnt 0x0
	v_subrev_nc_u32_e32 v11, s10, v11
	s_delay_alu instid0(VALU_DEP_1)
	v_mad_u32 v11, v11, 3, v9
	global_load_b64 v[12:13], v10, s[6:7] scale_offset
	global_load_b64 v[14:15], v11, s[12:13] scale_offset
	s_wait_loadcnt 0x0
	v_fmac_f64_e32 v[6:7], v[12:13], v[14:15]
	s_branch .LBB62_7
.LBB62_10:
	v_lshlrev_b32_e32 v1, 3, v0
	s_and_b32 vcc_lo, exec_lo, s11
	ds_store_b64 v1, v[6:7]
	s_wait_dscnt 0x0
	s_barrier_signal -1
	s_barrier_wait -1
	s_cbranch_vccz .LBB62_18
; %bb.11:
	v_cmp_eq_u16_e32 vcc_lo, 0, v8
	s_and_saveexec_b32 s0, vcc_lo
	s_cbranch_execz .LBB62_13
; %bb.12:
	ds_load_2addr_b64 v[8:11], v1 offset1:2
	s_wait_dscnt 0x0
	v_add_f64_e32 v[8:9], v[10:11], v[8:9]
	ds_store_b64 v1, v[8:9]
.LBB62_13:
	s_or_b32 exec_lo, exec_lo, s0
	s_wait_dscnt 0x0
	s_barrier_signal -1
	s_barrier_wait -1
	s_and_saveexec_b32 s0, vcc_lo
	s_cbranch_execz .LBB62_15
; %bb.14:
	ds_load_2addr_b64 v[8:11], v1 offset1:1
	s_wait_dscnt 0x0
	v_add_f64_e32 v[8:9], v[10:11], v[8:9]
	ds_store_b64 v1, v[8:9]
.LBB62_15:
	s_or_b32 exec_lo, exec_lo, s0
	v_mov_b64_e32 v[8:9], v[6:7]
	s_mov_b32 s0, exec_lo
	s_wait_dscnt 0x0
	s_barrier_signal -1
	s_barrier_wait -1
	v_cmpx_gt_u32_e32 16, v0
; %bb.16:
	v_lshl_add_u32 v8, v0, 4, v1
	ds_load_b64 v[8:9], v8
; %bb.17:
	s_or_b32 exec_lo, exec_lo, s0
	v_cmp_gt_u32_e64 s0, 16, v0
	s_branch .LBB62_26
.LBB62_18:
                                        ; implicit-def: $vgpr8_vgpr9
	v_cmp_gt_u32_e64 s0, 16, v0
	s_cbranch_execz .LBB62_26
; %bb.19:
	v_cmp_lt_u32_e32 vcc_lo, 15, v0
	s_and_saveexec_b32 s1, s0
	s_cbranch_execz .LBB62_21
; %bb.20:
	s_wait_dscnt 0x0
	ds_load_2addr_b64 v[8:11], v1 offset1:32
	s_wait_dscnt 0x0
	v_add_f64_e32 v[8:9], v[10:11], v[8:9]
	ds_store_b64 v1, v[8:9]
.LBB62_21:
	s_or_b32 exec_lo, exec_lo, s1
	s_wait_dscnt 0x0
	s_barrier_signal -1
	s_barrier_wait -1
	s_and_saveexec_b32 s0, vcc_lo
	s_delay_alu instid0(SALU_CYCLE_1)
	s_xor_b32 s0, exec_lo, s0
; %bb.22:
                                        ; implicit-def: $vgpr1
; %bb.23:
	s_delay_alu instid0(SALU_CYCLE_1)
	s_and_not1_saveexec_b32 s0, s0
	s_cbranch_execz .LBB62_25
; %bb.24:
	ds_load_2addr_b64 v[6:9], v1 offset1:16
	s_wait_dscnt 0x0
	v_add_f64_e32 v[6:7], v[8:9], v[6:7]
	ds_store_b64 v1, v[6:7]
	s_wait_dscnt 0x0
	ds_load_b64 v[6:7], v1
.LBB62_25:
	s_or_b32 exec_lo, exec_lo, s0
	s_wait_dscnt 0x0
	v_mov_b64_e32 v[8:9], v[6:7]
.LBB62_26:
	v_cmp_gt_u32_e32 vcc_lo, 16, v0
	s_and_b32 exec_lo, exec_lo, vcc_lo
	s_cbranch_execz .LBB62_31
; %bb.27:
	s_wait_dscnt 0x0
	s_delay_alu instid0(VALU_DEP_2)
	v_mul_f64_e32 v[4:5], v[4:5], v[8:9]
	v_lshl_or_b32 v0, s8, 4, v0
	s_mov_b32 s0, exec_lo
	v_cmpx_eq_f64_e32 0, v[2:3]
	s_xor_b32 s0, exec_lo, s0
	s_cbranch_execz .LBB62_29
; %bb.28:
	global_store_b64 v0, v[4:5], s[2:3] scale_offset
                                        ; implicit-def: $vgpr0
                                        ; implicit-def: $vgpr2_vgpr3
                                        ; implicit-def: $vgpr4_vgpr5
.LBB62_29:
	s_wait_xcnt 0x0
	s_and_not1_saveexec_b32 s0, s0
	s_cbranch_execz .LBB62_31
; %bb.30:
	global_load_b64 v[6:7], v0, s[2:3] scale_offset
	s_wait_loadcnt 0x0
	v_fmac_f64_e32 v[4:5], v[2:3], v[6:7]
	global_store_b64 v0, v[4:5], s[2:3] scale_offset
.LBB62_31:
	s_endpgm
	.section	.rodata,"a",@progbits
	.p2align	6, 0x0
	.amdhsa_kernel _ZN9rocsparseL22gebsrmvn_mxn_16_kernelILj48ELj16ELj3EdEEvi20rocsparse_direction_NS_24const_host_device_scalarIT2_EEPKiS6_PKS3_iiS8_S4_PS3_21rocsparse_index_base_b
		.amdhsa_group_segment_fixed_size 384
		.amdhsa_private_segment_fixed_size 0
		.amdhsa_kernarg_size 80
		.amdhsa_user_sgpr_count 2
		.amdhsa_user_sgpr_dispatch_ptr 0
		.amdhsa_user_sgpr_queue_ptr 0
		.amdhsa_user_sgpr_kernarg_segment_ptr 1
		.amdhsa_user_sgpr_dispatch_id 0
		.amdhsa_user_sgpr_kernarg_preload_length 0
		.amdhsa_user_sgpr_kernarg_preload_offset 0
		.amdhsa_user_sgpr_private_segment_size 0
		.amdhsa_wavefront_size32 1
		.amdhsa_uses_dynamic_stack 0
		.amdhsa_enable_private_segment 0
		.amdhsa_system_sgpr_workgroup_id_x 1
		.amdhsa_system_sgpr_workgroup_id_y 0
		.amdhsa_system_sgpr_workgroup_id_z 0
		.amdhsa_system_sgpr_workgroup_info 0
		.amdhsa_system_vgpr_workitem_id 0
		.amdhsa_next_free_vgpr 16
		.amdhsa_next_free_sgpr 16
		.amdhsa_named_barrier_count 0
		.amdhsa_reserve_vcc 1
		.amdhsa_float_round_mode_32 0
		.amdhsa_float_round_mode_16_64 0
		.amdhsa_float_denorm_mode_32 3
		.amdhsa_float_denorm_mode_16_64 3
		.amdhsa_fp16_overflow 0
		.amdhsa_memory_ordered 1
		.amdhsa_forward_progress 1
		.amdhsa_inst_pref_size 8
		.amdhsa_round_robin_scheduling 0
		.amdhsa_exception_fp_ieee_invalid_op 0
		.amdhsa_exception_fp_denorm_src 0
		.amdhsa_exception_fp_ieee_div_zero 0
		.amdhsa_exception_fp_ieee_overflow 0
		.amdhsa_exception_fp_ieee_underflow 0
		.amdhsa_exception_fp_ieee_inexact 0
		.amdhsa_exception_int_div_zero 0
	.end_amdhsa_kernel
	.section	.text._ZN9rocsparseL22gebsrmvn_mxn_16_kernelILj48ELj16ELj3EdEEvi20rocsparse_direction_NS_24const_host_device_scalarIT2_EEPKiS6_PKS3_iiS8_S4_PS3_21rocsparse_index_base_b,"axG",@progbits,_ZN9rocsparseL22gebsrmvn_mxn_16_kernelILj48ELj16ELj3EdEEvi20rocsparse_direction_NS_24const_host_device_scalarIT2_EEPKiS6_PKS3_iiS8_S4_PS3_21rocsparse_index_base_b,comdat
.Lfunc_end62:
	.size	_ZN9rocsparseL22gebsrmvn_mxn_16_kernelILj48ELj16ELj3EdEEvi20rocsparse_direction_NS_24const_host_device_scalarIT2_EEPKiS6_PKS3_iiS8_S4_PS3_21rocsparse_index_base_b, .Lfunc_end62-_ZN9rocsparseL22gebsrmvn_mxn_16_kernelILj48ELj16ELj3EdEEvi20rocsparse_direction_NS_24const_host_device_scalarIT2_EEPKiS6_PKS3_iiS8_S4_PS3_21rocsparse_index_base_b
                                        ; -- End function
	.set _ZN9rocsparseL22gebsrmvn_mxn_16_kernelILj48ELj16ELj3EdEEvi20rocsparse_direction_NS_24const_host_device_scalarIT2_EEPKiS6_PKS3_iiS8_S4_PS3_21rocsparse_index_base_b.num_vgpr, 16
	.set _ZN9rocsparseL22gebsrmvn_mxn_16_kernelILj48ELj16ELj3EdEEvi20rocsparse_direction_NS_24const_host_device_scalarIT2_EEPKiS6_PKS3_iiS8_S4_PS3_21rocsparse_index_base_b.num_agpr, 0
	.set _ZN9rocsparseL22gebsrmvn_mxn_16_kernelILj48ELj16ELj3EdEEvi20rocsparse_direction_NS_24const_host_device_scalarIT2_EEPKiS6_PKS3_iiS8_S4_PS3_21rocsparse_index_base_b.numbered_sgpr, 16
	.set _ZN9rocsparseL22gebsrmvn_mxn_16_kernelILj48ELj16ELj3EdEEvi20rocsparse_direction_NS_24const_host_device_scalarIT2_EEPKiS6_PKS3_iiS8_S4_PS3_21rocsparse_index_base_b.num_named_barrier, 0
	.set _ZN9rocsparseL22gebsrmvn_mxn_16_kernelILj48ELj16ELj3EdEEvi20rocsparse_direction_NS_24const_host_device_scalarIT2_EEPKiS6_PKS3_iiS8_S4_PS3_21rocsparse_index_base_b.private_seg_size, 0
	.set _ZN9rocsparseL22gebsrmvn_mxn_16_kernelILj48ELj16ELj3EdEEvi20rocsparse_direction_NS_24const_host_device_scalarIT2_EEPKiS6_PKS3_iiS8_S4_PS3_21rocsparse_index_base_b.uses_vcc, 1
	.set _ZN9rocsparseL22gebsrmvn_mxn_16_kernelILj48ELj16ELj3EdEEvi20rocsparse_direction_NS_24const_host_device_scalarIT2_EEPKiS6_PKS3_iiS8_S4_PS3_21rocsparse_index_base_b.uses_flat_scratch, 0
	.set _ZN9rocsparseL22gebsrmvn_mxn_16_kernelILj48ELj16ELj3EdEEvi20rocsparse_direction_NS_24const_host_device_scalarIT2_EEPKiS6_PKS3_iiS8_S4_PS3_21rocsparse_index_base_b.has_dyn_sized_stack, 0
	.set _ZN9rocsparseL22gebsrmvn_mxn_16_kernelILj48ELj16ELj3EdEEvi20rocsparse_direction_NS_24const_host_device_scalarIT2_EEPKiS6_PKS3_iiS8_S4_PS3_21rocsparse_index_base_b.has_recursion, 0
	.set _ZN9rocsparseL22gebsrmvn_mxn_16_kernelILj48ELj16ELj3EdEEvi20rocsparse_direction_NS_24const_host_device_scalarIT2_EEPKiS6_PKS3_iiS8_S4_PS3_21rocsparse_index_base_b.has_indirect_call, 0
	.section	.AMDGPU.csdata,"",@progbits
; Kernel info:
; codeLenInByte = 988
; TotalNumSgprs: 18
; NumVgprs: 16
; ScratchSize: 0
; MemoryBound: 0
; FloatMode: 240
; IeeeMode: 1
; LDSByteSize: 384 bytes/workgroup (compile time only)
; SGPRBlocks: 0
; VGPRBlocks: 0
; NumSGPRsForWavesPerEU: 18
; NumVGPRsForWavesPerEU: 16
; NamedBarCnt: 0
; Occupancy: 16
; WaveLimiterHint : 1
; COMPUTE_PGM_RSRC2:SCRATCH_EN: 0
; COMPUTE_PGM_RSRC2:USER_SGPR: 2
; COMPUTE_PGM_RSRC2:TRAP_HANDLER: 0
; COMPUTE_PGM_RSRC2:TGID_X_EN: 1
; COMPUTE_PGM_RSRC2:TGID_Y_EN: 0
; COMPUTE_PGM_RSRC2:TGID_Z_EN: 0
; COMPUTE_PGM_RSRC2:TIDIG_COMP_CNT: 0
	.section	.text._ZN9rocsparseL22gebsrmvn_mxn_16_kernelILj64ELj16ELj4EdEEvi20rocsparse_direction_NS_24const_host_device_scalarIT2_EEPKiS6_PKS3_iiS8_S4_PS3_21rocsparse_index_base_b,"axG",@progbits,_ZN9rocsparseL22gebsrmvn_mxn_16_kernelILj64ELj16ELj4EdEEvi20rocsparse_direction_NS_24const_host_device_scalarIT2_EEPKiS6_PKS3_iiS8_S4_PS3_21rocsparse_index_base_b,comdat
	.globl	_ZN9rocsparseL22gebsrmvn_mxn_16_kernelILj64ELj16ELj4EdEEvi20rocsparse_direction_NS_24const_host_device_scalarIT2_EEPKiS6_PKS3_iiS8_S4_PS3_21rocsparse_index_base_b ; -- Begin function _ZN9rocsparseL22gebsrmvn_mxn_16_kernelILj64ELj16ELj4EdEEvi20rocsparse_direction_NS_24const_host_device_scalarIT2_EEPKiS6_PKS3_iiS8_S4_PS3_21rocsparse_index_base_b
	.p2align	8
	.type	_ZN9rocsparseL22gebsrmvn_mxn_16_kernelILj64ELj16ELj4EdEEvi20rocsparse_direction_NS_24const_host_device_scalarIT2_EEPKiS6_PKS3_iiS8_S4_PS3_21rocsparse_index_base_b,@function
_ZN9rocsparseL22gebsrmvn_mxn_16_kernelILj64ELj16ELj4EdEEvi20rocsparse_direction_NS_24const_host_device_scalarIT2_EEPKiS6_PKS3_iiS8_S4_PS3_21rocsparse_index_base_b: ; @_ZN9rocsparseL22gebsrmvn_mxn_16_kernelILj64ELj16ELj4EdEEvi20rocsparse_direction_NS_24const_host_device_scalarIT2_EEPKiS6_PKS3_iiS8_S4_PS3_21rocsparse_index_base_b
; %bb.0:
	s_clause 0x2
	s_load_b64 s[10:11], s[0:1], 0x48
	s_load_b64 s[4:5], s[0:1], 0x8
	;; [unrolled: 1-line block ×3, first 2 shown]
	s_wait_kmcnt 0x0
	s_bitcmp1_b32 s11, 0
	v_mov_b64_e32 v[4:5], s[4:5]
	s_cselect_b32 s6, -1, 0
	s_delay_alu instid0(SALU_CYCLE_1)
	s_and_b32 vcc_lo, exec_lo, s6
	s_xor_b32 s6, s6, -1
	s_cbranch_vccnz .LBB63_2
; %bb.1:
	v_mov_b32_e32 v1, 0
	flat_load_b64 v[4:5], v1, s[4:5]
.LBB63_2:
	v_mov_b64_e32 v[2:3], s[2:3]
	s_and_not1_b32 vcc_lo, exec_lo, s6
	s_cbranch_vccnz .LBB63_4
; %bb.3:
	s_wait_xcnt 0x0
	v_mov_b32_e32 v1, 0
	flat_load_b64 v[2:3], v1, s[2:3]
.LBB63_4:
	s_wait_loadcnt_dscnt 0x0
	v_cmp_neq_f64_e32 vcc_lo, 0, v[4:5]
	s_delay_alu instid0(VALU_DEP_2) | instskip(SKIP_1) | instid1(SALU_CYCLE_1)
	v_cmp_neq_f64_e64 s2, 1.0, v[2:3]
	s_or_b32 s2, vcc_lo, s2
	s_and_saveexec_b32 s3, s2
	s_cbranch_execz .LBB63_31
; %bb.5:
	s_clause 0x1
	s_load_b32 s4, s[0:1], 0x4
	s_load_b64 s[2:3], s[0:1], 0x10
	s_bfe_u32 s5, ttmp6, 0x4000c
	s_and_b32 s6, ttmp6, 15
	s_add_co_i32 s5, s5, 1
	s_getreg_b32 s7, hwreg(HW_REG_IB_STS2, 6, 4)
	s_mul_i32 s5, ttmp9, s5
	v_mov_b64_e32 v[6:7], 0
	s_add_co_i32 s6, s6, s5
	s_cmp_eq_u32 s7, 0
	v_and_b32_e32 v8, 3, v0
	s_cselect_b32 s8, ttmp9, s6
	s_wait_kmcnt 0x0
	s_cmp_eq_u32 s4, 1
	s_cselect_b32 vcc_lo, -1, 0
	s_cmp_lg_u32 s4, 1
	s_cselect_b32 s11, -1, 0
	s_ashr_i32 s9, s8, 31
	s_delay_alu instid0(SALU_CYCLE_1) | instskip(NEXT) | instid1(SALU_CYCLE_1)
	s_lshl_b64 s[4:5], s[8:9], 2
	s_add_nc_u64 s[4:5], s[2:3], s[4:5]
	s_load_b64 s[14:15], s[4:5], 0x0
	s_load_b64 s[2:3], s[0:1], 0x40
	s_wait_kmcnt 0x0
	s_cmp_ge_i32 s14, s15
	s_cbranch_scc1 .LBB63_10
; %bb.6:
	s_clause 0x1
	s_load_b128 s[4:7], s[0:1], 0x18
	s_load_b64 s[12:13], s[0:1], 0x30
	v_lshrrev_b32_e32 v1, 4, v0
	v_lshl_or_b32 v9, s14, 6, v0
	s_wait_xcnt 0x0
	s_lshl_b32 s0, s10, 6
	v_mov_b64_e32 v[6:7], 0
	s_sub_co_i32 s1, s14, s10
	v_cndmask_b32_e32 v1, v8, v1, vcc_lo
	v_subrev_nc_u32_e32 v9, s0, v9
	s_sub_co_i32 s0, s15, s10
	s_branch .LBB63_8
.LBB63_7:                               ;   in Loop: Header=BB63_8 Depth=1
	s_or_b32 exec_lo, exec_lo, s9
	v_add_nc_u32_e32 v9, 64, v9
	s_add_co_i32 s1, s1, 1
	s_delay_alu instid0(SALU_CYCLE_1)
	s_cmp_ge_i32 s1, s0
	s_cbranch_scc1 .LBB63_10
.LBB63_8:                               ; =>This Inner Loop Header: Depth=1
	s_cmp_lt_i32 s1, s0
	s_cselect_b32 s14, -1, 0
	s_delay_alu instid0(SALU_CYCLE_1)
	s_and_saveexec_b32 s9, s14
	s_cbranch_execz .LBB63_7
; %bb.9:                                ;   in Loop: Header=BB63_8 Depth=1
	v_mov_b32_e32 v10, s1
	s_wait_kmcnt 0x0
	global_load_b32 v10, v10, s[4:5] scale_offset
	s_wait_loadcnt 0x0
	v_subrev_nc_u32_e32 v10, s10, v10
	s_delay_alu instid0(VALU_DEP_1)
	v_lshl_or_b32 v14, v10, 2, v1
	global_load_b64 v[10:11], v9, s[6:7] scale_offset
	global_load_b64 v[12:13], v14, s[12:13] scale_offset
	s_wait_loadcnt 0x0
	v_fmac_f64_e32 v[6:7], v[10:11], v[12:13]
	s_branch .LBB63_7
.LBB63_10:
	v_lshlrev_b32_e32 v1, 3, v0
	s_and_b32 vcc_lo, exec_lo, s11
	ds_store_b64 v1, v[6:7]
	s_wait_dscnt 0x0
	s_barrier_signal -1
	s_barrier_wait -1
	s_cbranch_vccz .LBB63_18
; %bb.11:
	s_mov_b32 s0, exec_lo
	v_cmpx_gt_u32_e32 2, v8
	s_cbranch_execz .LBB63_13
; %bb.12:
	ds_load_2addr_b64 v[10:13], v1 offset1:2
	s_wait_dscnt 0x0
	v_add_f64_e32 v[10:11], v[12:13], v[10:11]
	ds_store_b64 v1, v[10:11]
.LBB63_13:
	s_or_b32 exec_lo, exec_lo, s0
	s_delay_alu instid0(SALU_CYCLE_1)
	s_mov_b32 s0, exec_lo
	s_wait_dscnt 0x0
	s_barrier_signal -1
	s_barrier_wait -1
	v_cmpx_eq_u32_e32 0, v8
	s_cbranch_execz .LBB63_15
; %bb.14:
	ds_load_2addr_b64 v[8:11], v1 offset1:1
	s_wait_dscnt 0x0
	v_add_f64_e32 v[8:9], v[10:11], v[8:9]
	ds_store_b64 v1, v[8:9]
.LBB63_15:
	s_or_b32 exec_lo, exec_lo, s0
	v_mov_b64_e32 v[8:9], v[6:7]
	s_mov_b32 s0, exec_lo
	s_wait_dscnt 0x0
	s_barrier_signal -1
	s_barrier_wait -1
	v_cmpx_gt_u32_e32 16, v0
; %bb.16:
	v_mad_u32_u24 v8, v0, 24, v1
	ds_load_b64 v[8:9], v8
; %bb.17:
	s_or_b32 exec_lo, exec_lo, s0
	s_branch .LBB63_26
.LBB63_18:
                                        ; implicit-def: $vgpr8_vgpr9
	s_cbranch_execz .LBB63_26
; %bb.19:
	s_mov_b32 s0, exec_lo
	v_cmpx_gt_u32_e32 32, v0
	s_cbranch_execz .LBB63_21
; %bb.20:
	s_wait_dscnt 0x0
	ds_load_2addr_b64 v[8:11], v1 offset1:32
	s_wait_dscnt 0x0
	v_add_f64_e32 v[8:9], v[10:11], v[8:9]
	ds_store_b64 v1, v[8:9]
.LBB63_21:
	s_or_b32 exec_lo, exec_lo, s0
	s_delay_alu instid0(SALU_CYCLE_1)
	s_mov_b32 s0, exec_lo
	s_wait_dscnt 0x0
	v_cmpx_lt_u32_e32 15, v0
	s_xor_b32 s0, exec_lo, s0
; %bb.22:
                                        ; implicit-def: $vgpr1
; %bb.23:
	s_delay_alu instid0(SALU_CYCLE_1)
	s_and_not1_saveexec_b32 s0, s0
	s_cbranch_execz .LBB63_25
; %bb.24:
	ds_load_2addr_b64 v[6:9], v1 offset1:16
	s_wait_dscnt 0x0
	v_add_f64_e32 v[6:7], v[8:9], v[6:7]
	ds_store_b64 v1, v[6:7]
	s_wait_dscnt 0x0
	ds_load_b64 v[6:7], v1
.LBB63_25:
	s_or_b32 exec_lo, exec_lo, s0
	s_wait_dscnt 0x0
	v_mov_b64_e32 v[8:9], v[6:7]
.LBB63_26:
	v_cmp_gt_u32_e32 vcc_lo, 16, v0
	s_and_b32 exec_lo, exec_lo, vcc_lo
	s_cbranch_execz .LBB63_31
; %bb.27:
	s_wait_dscnt 0x0
	s_delay_alu instid0(VALU_DEP_2)
	v_mul_f64_e32 v[4:5], v[4:5], v[8:9]
	v_lshl_or_b32 v0, s8, 4, v0
	s_mov_b32 s0, exec_lo
	v_cmpx_eq_f64_e32 0, v[2:3]
	s_xor_b32 s0, exec_lo, s0
	s_cbranch_execz .LBB63_29
; %bb.28:
	global_store_b64 v0, v[4:5], s[2:3] scale_offset
                                        ; implicit-def: $vgpr0
                                        ; implicit-def: $vgpr2_vgpr3
                                        ; implicit-def: $vgpr4_vgpr5
.LBB63_29:
	s_wait_xcnt 0x0
	s_and_not1_saveexec_b32 s0, s0
	s_cbranch_execz .LBB63_31
; %bb.30:
	global_load_b64 v[6:7], v0, s[2:3] scale_offset
	s_wait_loadcnt 0x0
	v_fmac_f64_e32 v[4:5], v[2:3], v[6:7]
	global_store_b64 v0, v[4:5], s[2:3] scale_offset
.LBB63_31:
	s_endpgm
	.section	.rodata,"a",@progbits
	.p2align	6, 0x0
	.amdhsa_kernel _ZN9rocsparseL22gebsrmvn_mxn_16_kernelILj64ELj16ELj4EdEEvi20rocsparse_direction_NS_24const_host_device_scalarIT2_EEPKiS6_PKS3_iiS8_S4_PS3_21rocsparse_index_base_b
		.amdhsa_group_segment_fixed_size 512
		.amdhsa_private_segment_fixed_size 0
		.amdhsa_kernarg_size 80
		.amdhsa_user_sgpr_count 2
		.amdhsa_user_sgpr_dispatch_ptr 0
		.amdhsa_user_sgpr_queue_ptr 0
		.amdhsa_user_sgpr_kernarg_segment_ptr 1
		.amdhsa_user_sgpr_dispatch_id 0
		.amdhsa_user_sgpr_kernarg_preload_length 0
		.amdhsa_user_sgpr_kernarg_preload_offset 0
		.amdhsa_user_sgpr_private_segment_size 0
		.amdhsa_wavefront_size32 1
		.amdhsa_uses_dynamic_stack 0
		.amdhsa_enable_private_segment 0
		.amdhsa_system_sgpr_workgroup_id_x 1
		.amdhsa_system_sgpr_workgroup_id_y 0
		.amdhsa_system_sgpr_workgroup_id_z 0
		.amdhsa_system_sgpr_workgroup_info 0
		.amdhsa_system_vgpr_workitem_id 0
		.amdhsa_next_free_vgpr 15
		.amdhsa_next_free_sgpr 16
		.amdhsa_named_barrier_count 0
		.amdhsa_reserve_vcc 1
		.amdhsa_float_round_mode_32 0
		.amdhsa_float_round_mode_16_64 0
		.amdhsa_float_denorm_mode_32 3
		.amdhsa_float_denorm_mode_16_64 3
		.amdhsa_fp16_overflow 0
		.amdhsa_memory_ordered 1
		.amdhsa_forward_progress 1
		.amdhsa_inst_pref_size 7
		.amdhsa_round_robin_scheduling 0
		.amdhsa_exception_fp_ieee_invalid_op 0
		.amdhsa_exception_fp_denorm_src 0
		.amdhsa_exception_fp_ieee_div_zero 0
		.amdhsa_exception_fp_ieee_overflow 0
		.amdhsa_exception_fp_ieee_underflow 0
		.amdhsa_exception_fp_ieee_inexact 0
		.amdhsa_exception_int_div_zero 0
	.end_amdhsa_kernel
	.section	.text._ZN9rocsparseL22gebsrmvn_mxn_16_kernelILj64ELj16ELj4EdEEvi20rocsparse_direction_NS_24const_host_device_scalarIT2_EEPKiS6_PKS3_iiS8_S4_PS3_21rocsparse_index_base_b,"axG",@progbits,_ZN9rocsparseL22gebsrmvn_mxn_16_kernelILj64ELj16ELj4EdEEvi20rocsparse_direction_NS_24const_host_device_scalarIT2_EEPKiS6_PKS3_iiS8_S4_PS3_21rocsparse_index_base_b,comdat
.Lfunc_end63:
	.size	_ZN9rocsparseL22gebsrmvn_mxn_16_kernelILj64ELj16ELj4EdEEvi20rocsparse_direction_NS_24const_host_device_scalarIT2_EEPKiS6_PKS3_iiS8_S4_PS3_21rocsparse_index_base_b, .Lfunc_end63-_ZN9rocsparseL22gebsrmvn_mxn_16_kernelILj64ELj16ELj4EdEEvi20rocsparse_direction_NS_24const_host_device_scalarIT2_EEPKiS6_PKS3_iiS8_S4_PS3_21rocsparse_index_base_b
                                        ; -- End function
	.set _ZN9rocsparseL22gebsrmvn_mxn_16_kernelILj64ELj16ELj4EdEEvi20rocsparse_direction_NS_24const_host_device_scalarIT2_EEPKiS6_PKS3_iiS8_S4_PS3_21rocsparse_index_base_b.num_vgpr, 15
	.set _ZN9rocsparseL22gebsrmvn_mxn_16_kernelILj64ELj16ELj4EdEEvi20rocsparse_direction_NS_24const_host_device_scalarIT2_EEPKiS6_PKS3_iiS8_S4_PS3_21rocsparse_index_base_b.num_agpr, 0
	.set _ZN9rocsparseL22gebsrmvn_mxn_16_kernelILj64ELj16ELj4EdEEvi20rocsparse_direction_NS_24const_host_device_scalarIT2_EEPKiS6_PKS3_iiS8_S4_PS3_21rocsparse_index_base_b.numbered_sgpr, 16
	.set _ZN9rocsparseL22gebsrmvn_mxn_16_kernelILj64ELj16ELj4EdEEvi20rocsparse_direction_NS_24const_host_device_scalarIT2_EEPKiS6_PKS3_iiS8_S4_PS3_21rocsparse_index_base_b.num_named_barrier, 0
	.set _ZN9rocsparseL22gebsrmvn_mxn_16_kernelILj64ELj16ELj4EdEEvi20rocsparse_direction_NS_24const_host_device_scalarIT2_EEPKiS6_PKS3_iiS8_S4_PS3_21rocsparse_index_base_b.private_seg_size, 0
	.set _ZN9rocsparseL22gebsrmvn_mxn_16_kernelILj64ELj16ELj4EdEEvi20rocsparse_direction_NS_24const_host_device_scalarIT2_EEPKiS6_PKS3_iiS8_S4_PS3_21rocsparse_index_base_b.uses_vcc, 1
	.set _ZN9rocsparseL22gebsrmvn_mxn_16_kernelILj64ELj16ELj4EdEEvi20rocsparse_direction_NS_24const_host_device_scalarIT2_EEPKiS6_PKS3_iiS8_S4_PS3_21rocsparse_index_base_b.uses_flat_scratch, 0
	.set _ZN9rocsparseL22gebsrmvn_mxn_16_kernelILj64ELj16ELj4EdEEvi20rocsparse_direction_NS_24const_host_device_scalarIT2_EEPKiS6_PKS3_iiS8_S4_PS3_21rocsparse_index_base_b.has_dyn_sized_stack, 0
	.set _ZN9rocsparseL22gebsrmvn_mxn_16_kernelILj64ELj16ELj4EdEEvi20rocsparse_direction_NS_24const_host_device_scalarIT2_EEPKiS6_PKS3_iiS8_S4_PS3_21rocsparse_index_base_b.has_recursion, 0
	.set _ZN9rocsparseL22gebsrmvn_mxn_16_kernelILj64ELj16ELj4EdEEvi20rocsparse_direction_NS_24const_host_device_scalarIT2_EEPKiS6_PKS3_iiS8_S4_PS3_21rocsparse_index_base_b.has_indirect_call, 0
	.section	.AMDGPU.csdata,"",@progbits
; Kernel info:
; codeLenInByte = 864
; TotalNumSgprs: 18
; NumVgprs: 15
; ScratchSize: 0
; MemoryBound: 0
; FloatMode: 240
; IeeeMode: 1
; LDSByteSize: 512 bytes/workgroup (compile time only)
; SGPRBlocks: 0
; VGPRBlocks: 0
; NumSGPRsForWavesPerEU: 18
; NumVGPRsForWavesPerEU: 15
; NamedBarCnt: 0
; Occupancy: 16
; WaveLimiterHint : 1
; COMPUTE_PGM_RSRC2:SCRATCH_EN: 0
; COMPUTE_PGM_RSRC2:USER_SGPR: 2
; COMPUTE_PGM_RSRC2:TRAP_HANDLER: 0
; COMPUTE_PGM_RSRC2:TGID_X_EN: 1
; COMPUTE_PGM_RSRC2:TGID_Y_EN: 0
; COMPUTE_PGM_RSRC2:TGID_Z_EN: 0
; COMPUTE_PGM_RSRC2:TIDIG_COMP_CNT: 0
	.section	.text._ZN9rocsparseL22gebsrmvn_mxn_16_kernelILj80ELj16ELj5EdEEvi20rocsparse_direction_NS_24const_host_device_scalarIT2_EEPKiS6_PKS3_iiS8_S4_PS3_21rocsparse_index_base_b,"axG",@progbits,_ZN9rocsparseL22gebsrmvn_mxn_16_kernelILj80ELj16ELj5EdEEvi20rocsparse_direction_NS_24const_host_device_scalarIT2_EEPKiS6_PKS3_iiS8_S4_PS3_21rocsparse_index_base_b,comdat
	.globl	_ZN9rocsparseL22gebsrmvn_mxn_16_kernelILj80ELj16ELj5EdEEvi20rocsparse_direction_NS_24const_host_device_scalarIT2_EEPKiS6_PKS3_iiS8_S4_PS3_21rocsparse_index_base_b ; -- Begin function _ZN9rocsparseL22gebsrmvn_mxn_16_kernelILj80ELj16ELj5EdEEvi20rocsparse_direction_NS_24const_host_device_scalarIT2_EEPKiS6_PKS3_iiS8_S4_PS3_21rocsparse_index_base_b
	.p2align	8
	.type	_ZN9rocsparseL22gebsrmvn_mxn_16_kernelILj80ELj16ELj5EdEEvi20rocsparse_direction_NS_24const_host_device_scalarIT2_EEPKiS6_PKS3_iiS8_S4_PS3_21rocsparse_index_base_b,@function
_ZN9rocsparseL22gebsrmvn_mxn_16_kernelILj80ELj16ELj5EdEEvi20rocsparse_direction_NS_24const_host_device_scalarIT2_EEPKiS6_PKS3_iiS8_S4_PS3_21rocsparse_index_base_b: ; @_ZN9rocsparseL22gebsrmvn_mxn_16_kernelILj80ELj16ELj5EdEEvi20rocsparse_direction_NS_24const_host_device_scalarIT2_EEPKiS6_PKS3_iiS8_S4_PS3_21rocsparse_index_base_b
; %bb.0:
	s_clause 0x2
	s_load_b64 s[10:11], s[0:1], 0x48
	s_load_b64 s[4:5], s[0:1], 0x8
	;; [unrolled: 1-line block ×3, first 2 shown]
	s_wait_kmcnt 0x0
	s_bitcmp1_b32 s11, 0
	v_mov_b64_e32 v[4:5], s[4:5]
	s_cselect_b32 s6, -1, 0
	s_delay_alu instid0(SALU_CYCLE_1)
	s_and_b32 vcc_lo, exec_lo, s6
	s_xor_b32 s6, s6, -1
	s_cbranch_vccnz .LBB64_2
; %bb.1:
	v_mov_b32_e32 v1, 0
	flat_load_b64 v[4:5], v1, s[4:5]
.LBB64_2:
	v_mov_b64_e32 v[2:3], s[2:3]
	s_and_not1_b32 vcc_lo, exec_lo, s6
	s_cbranch_vccnz .LBB64_4
; %bb.3:
	s_wait_xcnt 0x0
	v_mov_b32_e32 v1, 0
	flat_load_b64 v[2:3], v1, s[2:3]
.LBB64_4:
	s_wait_loadcnt_dscnt 0x0
	v_cmp_neq_f64_e32 vcc_lo, 0, v[4:5]
	s_delay_alu instid0(VALU_DEP_2) | instskip(SKIP_1) | instid1(SALU_CYCLE_1)
	v_cmp_neq_f64_e64 s2, 1.0, v[2:3]
	s_or_b32 s2, vcc_lo, s2
	s_and_saveexec_b32 s3, s2
	s_cbranch_execz .LBB64_35
; %bb.5:
	s_clause 0x1
	s_load_b32 s4, s[0:1], 0x4
	s_load_b64 s[2:3], s[0:1], 0x10
	s_bfe_u32 s5, ttmp6, 0x4000c
	s_and_b32 s6, ttmp6, 15
	s_add_co_i32 s5, s5, 1
	s_getreg_b32 s7, hwreg(HW_REG_IB_STS2, 6, 4)
	s_mul_i32 s5, ttmp9, s5
	v_mul_u32_u24_e32 v1, 0x3334, v0
	s_add_co_i32 s6, s6, s5
	s_cmp_eq_u32 s7, 0
	v_mov_b64_e32 v[6:7], 0
	s_cselect_b32 s8, ttmp9, s6
	v_lshrrev_b32_e32 v1, 16, v1
	s_delay_alu instid0(VALU_DEP_1) | instskip(SKIP_2) | instid1(VALU_DEP_1)
	v_mul_lo_u16 v1, v1, 5
	s_wait_kmcnt 0x0
	s_cmp_eq_u32 s4, 1
	v_sub_nc_u16 v8, v0, v1
	s_cselect_b32 vcc_lo, -1, 0
	s_cmp_lg_u32 s4, 1
	s_cselect_b32 s11, -1, 0
	s_ashr_i32 s9, s8, 31
	s_delay_alu instid0(SALU_CYCLE_1) | instskip(NEXT) | instid1(SALU_CYCLE_1)
	s_lshl_b64 s[4:5], s[8:9], 2
	s_add_nc_u64 s[4:5], s[2:3], s[4:5]
	s_load_b64 s[14:15], s[4:5], 0x0
	s_load_b64 s[2:3], s[0:1], 0x40
	s_wait_kmcnt 0x0
	s_cmp_ge_i32 s14, s15
	s_cbranch_scc1 .LBB64_10
; %bb.6:
	v_lshrrev_b32_e32 v1, 4, v0
	s_clause 0x1
	s_load_b128 s[4:7], s[0:1], 0x18
	s_load_b64 s[12:13], s[0:1], 0x30
	v_mad_u32 v10, 0x50, s14, v0
	v_and_b32_e32 v7, 0xffff, v0
	v_and_b32_e32 v9, 0xffff, v8
	v_mul_lo_u16 v6, v1, 52
	s_wait_xcnt 0x0
	s_mul_i32 s0, s10, 0x50
	s_sub_co_i32 s1, s14, s10
	v_mul_u32_u24_e32 v11, 0x334, v7
	v_lshrrev_b16 v6, 8, v6
	v_subrev_nc_u32_e32 v10, s0, v10
	s_sub_co_i32 s0, s15, s10
	s_delay_alu instid0(VALU_DEP_2) | instskip(NEXT) | instid1(VALU_DEP_1)
	v_mul_lo_u16 v6, v6, 5
	v_sub_nc_u16 v1, v1, v6
	v_mov_b64_e32 v[6:7], 0
	s_delay_alu instid0(VALU_DEP_2) | instskip(NEXT) | instid1(VALU_DEP_1)
	v_and_b32_e32 v12, 0xff, v1
	v_dual_lshrrev_b32 v1, 16, v11 :: v_dual_cndmask_b32 v9, v9, v12, vcc_lo
	s_branch .LBB64_8
.LBB64_7:                               ;   in Loop: Header=BB64_8 Depth=1
	s_or_b32 exec_lo, exec_lo, s9
	v_add_nc_u32_e32 v10, 0x50, v10
	s_add_co_i32 s1, s1, 1
	s_delay_alu instid0(SALU_CYCLE_1)
	s_cmp_ge_i32 s1, s0
	s_cbranch_scc1 .LBB64_10
.LBB64_8:                               ; =>This Inner Loop Header: Depth=1
	s_delay_alu instid0(VALU_DEP_1) | instskip(SKIP_1) | instid1(VALU_DEP_1)
	v_add_nc_u32_e32 v11, s1, v1
	s_mov_b32 s9, exec_lo
	v_cmpx_gt_i32_e64 s0, v11
	s_cbranch_execz .LBB64_7
; %bb.9:                                ;   in Loop: Header=BB64_8 Depth=1
	s_wait_kmcnt 0x0
	global_load_b32 v11, v11, s[4:5] scale_offset
	s_wait_loadcnt 0x0
	v_subrev_nc_u32_e32 v11, s10, v11
	s_delay_alu instid0(VALU_DEP_1)
	v_mad_u32 v11, v11, 5, v9
	global_load_b64 v[12:13], v10, s[6:7] scale_offset
	global_load_b64 v[14:15], v11, s[12:13] scale_offset
	s_wait_loadcnt 0x0
	v_fmac_f64_e32 v[6:7], v[12:13], v[14:15]
	s_branch .LBB64_7
.LBB64_10:
	v_lshlrev_b32_e32 v1, 3, v0
	s_and_b32 vcc_lo, exec_lo, s11
	ds_store_b64 v1, v[6:7]
	s_wait_dscnt 0x0
	s_barrier_signal -1
	s_barrier_wait -1
	s_cbranch_vccz .LBB64_20
; %bb.11:
	v_cmp_eq_u16_e32 vcc_lo, 0, v8
	s_and_saveexec_b32 s0, vcc_lo
	s_cbranch_execz .LBB64_13
; %bb.12:
	ds_load_2addr_b64 v[10:13], v1 offset1:4
	s_wait_dscnt 0x0
	v_add_f64_e32 v[10:11], v[12:13], v[10:11]
	ds_store_b64 v1, v[10:11]
.LBB64_13:
	s_or_b32 exec_lo, exec_lo, s0
	s_delay_alu instid0(SALU_CYCLE_1)
	s_mov_b32 s1, exec_lo
	s_wait_dscnt 0x0
	s_barrier_signal -1
	s_barrier_wait -1
	v_cmpx_gt_u16_e32 2, v8
	s_cbranch_execz .LBB64_15
; %bb.14:
	ds_load_2addr_b64 v[8:11], v1 offset1:2
	s_wait_dscnt 0x0
	v_add_f64_e32 v[8:9], v[10:11], v[8:9]
	ds_store_b64 v1, v[8:9]
.LBB64_15:
	s_or_b32 exec_lo, exec_lo, s1
	s_wait_dscnt 0x0
	s_barrier_signal -1
	s_barrier_wait -1
	s_and_saveexec_b32 s0, vcc_lo
	s_cbranch_execz .LBB64_17
; %bb.16:
	ds_load_2addr_b64 v[8:11], v1 offset1:1
	s_wait_dscnt 0x0
	v_add_f64_e32 v[8:9], v[10:11], v[8:9]
	ds_store_b64 v1, v[8:9]
.LBB64_17:
	s_or_b32 exec_lo, exec_lo, s0
	v_mov_b64_e32 v[8:9], v[6:7]
	s_mov_b32 s0, exec_lo
	s_wait_dscnt 0x0
	s_barrier_signal -1
	s_barrier_wait -1
	v_cmpx_gt_u32_e32 16, v0
; %bb.18:
	v_lshl_add_u32 v8, v0, 5, v1
	ds_load_b64 v[8:9], v8
; %bb.19:
	s_or_b32 exec_lo, exec_lo, s0
	v_cmp_gt_u32_e64 s0, 16, v0
	s_branch .LBB64_30
.LBB64_20:
                                        ; implicit-def: $vgpr8_vgpr9
	v_cmp_gt_u32_e64 s0, 16, v0
	s_cbranch_execz .LBB64_30
; %bb.21:
	v_cmp_lt_u32_e32 vcc_lo, 15, v0
	s_and_saveexec_b32 s1, s0
	s_cbranch_execz .LBB64_23
; %bb.22:
	s_wait_dscnt 0x0
	ds_load_2addr_stride64_b64 v[8:11], v1 offset1:1
	s_wait_dscnt 0x0
	v_add_f64_e32 v[8:9], v[10:11], v[8:9]
	ds_store_b64 v1, v[8:9]
.LBB64_23:
	s_or_b32 exec_lo, exec_lo, s1
	s_delay_alu instid0(SALU_CYCLE_1)
	s_mov_b32 s1, exec_lo
	s_wait_dscnt 0x0
	s_barrier_signal -1
	s_barrier_wait -1
	v_cmpx_gt_u32_e32 32, v0
	s_cbranch_execz .LBB64_25
; %bb.24:
	ds_load_2addr_b64 v[8:11], v1 offset1:32
	s_wait_dscnt 0x0
	v_add_f64_e32 v[8:9], v[10:11], v[8:9]
	ds_store_b64 v1, v[8:9]
.LBB64_25:
	s_or_b32 exec_lo, exec_lo, s1
	s_wait_dscnt 0x0
	s_and_saveexec_b32 s0, vcc_lo
	s_delay_alu instid0(SALU_CYCLE_1)
	s_xor_b32 s0, exec_lo, s0
; %bb.26:
                                        ; implicit-def: $vgpr1
; %bb.27:
	s_delay_alu instid0(SALU_CYCLE_1)
	s_and_not1_saveexec_b32 s0, s0
	s_cbranch_execz .LBB64_29
; %bb.28:
	ds_load_2addr_b64 v[6:9], v1 offset1:16
	s_wait_dscnt 0x0
	v_add_f64_e32 v[6:7], v[8:9], v[6:7]
	ds_store_b64 v1, v[6:7]
	s_wait_dscnt 0x0
	ds_load_b64 v[6:7], v1
.LBB64_29:
	s_or_b32 exec_lo, exec_lo, s0
	s_wait_dscnt 0x0
	v_mov_b64_e32 v[8:9], v[6:7]
.LBB64_30:
	v_cmp_gt_u32_e32 vcc_lo, 16, v0
	s_and_b32 exec_lo, exec_lo, vcc_lo
	s_cbranch_execz .LBB64_35
; %bb.31:
	s_wait_dscnt 0x0
	s_delay_alu instid0(VALU_DEP_2)
	v_mul_f64_e32 v[4:5], v[4:5], v[8:9]
	v_lshl_or_b32 v0, s8, 4, v0
	s_mov_b32 s0, exec_lo
	v_cmpx_eq_f64_e32 0, v[2:3]
	s_xor_b32 s0, exec_lo, s0
	s_cbranch_execz .LBB64_33
; %bb.32:
	global_store_b64 v0, v[4:5], s[2:3] scale_offset
                                        ; implicit-def: $vgpr0
                                        ; implicit-def: $vgpr2_vgpr3
                                        ; implicit-def: $vgpr4_vgpr5
.LBB64_33:
	s_wait_xcnt 0x0
	s_and_not1_saveexec_b32 s0, s0
	s_cbranch_execz .LBB64_35
; %bb.34:
	global_load_b64 v[6:7], v0, s[2:3] scale_offset
	s_wait_loadcnt 0x0
	v_fmac_f64_e32 v[4:5], v[2:3], v[6:7]
	global_store_b64 v0, v[4:5], s[2:3] scale_offset
.LBB64_35:
	s_endpgm
	.section	.rodata,"a",@progbits
	.p2align	6, 0x0
	.amdhsa_kernel _ZN9rocsparseL22gebsrmvn_mxn_16_kernelILj80ELj16ELj5EdEEvi20rocsparse_direction_NS_24const_host_device_scalarIT2_EEPKiS6_PKS3_iiS8_S4_PS3_21rocsparse_index_base_b
		.amdhsa_group_segment_fixed_size 640
		.amdhsa_private_segment_fixed_size 0
		.amdhsa_kernarg_size 80
		.amdhsa_user_sgpr_count 2
		.amdhsa_user_sgpr_dispatch_ptr 0
		.amdhsa_user_sgpr_queue_ptr 0
		.amdhsa_user_sgpr_kernarg_segment_ptr 1
		.amdhsa_user_sgpr_dispatch_id 0
		.amdhsa_user_sgpr_kernarg_preload_length 0
		.amdhsa_user_sgpr_kernarg_preload_offset 0
		.amdhsa_user_sgpr_private_segment_size 0
		.amdhsa_wavefront_size32 1
		.amdhsa_uses_dynamic_stack 0
		.amdhsa_enable_private_segment 0
		.amdhsa_system_sgpr_workgroup_id_x 1
		.amdhsa_system_sgpr_workgroup_id_y 0
		.amdhsa_system_sgpr_workgroup_id_z 0
		.amdhsa_system_sgpr_workgroup_info 0
		.amdhsa_system_vgpr_workitem_id 0
		.amdhsa_next_free_vgpr 16
		.amdhsa_next_free_sgpr 16
		.amdhsa_named_barrier_count 0
		.amdhsa_reserve_vcc 1
		.amdhsa_float_round_mode_32 0
		.amdhsa_float_round_mode_16_64 0
		.amdhsa_float_denorm_mode_32 3
		.amdhsa_float_denorm_mode_16_64 3
		.amdhsa_fp16_overflow 0
		.amdhsa_memory_ordered 1
		.amdhsa_forward_progress 1
		.amdhsa_inst_pref_size 9
		.amdhsa_round_robin_scheduling 0
		.amdhsa_exception_fp_ieee_invalid_op 0
		.amdhsa_exception_fp_denorm_src 0
		.amdhsa_exception_fp_ieee_div_zero 0
		.amdhsa_exception_fp_ieee_overflow 0
		.amdhsa_exception_fp_ieee_underflow 0
		.amdhsa_exception_fp_ieee_inexact 0
		.amdhsa_exception_int_div_zero 0
	.end_amdhsa_kernel
	.section	.text._ZN9rocsparseL22gebsrmvn_mxn_16_kernelILj80ELj16ELj5EdEEvi20rocsparse_direction_NS_24const_host_device_scalarIT2_EEPKiS6_PKS3_iiS8_S4_PS3_21rocsparse_index_base_b,"axG",@progbits,_ZN9rocsparseL22gebsrmvn_mxn_16_kernelILj80ELj16ELj5EdEEvi20rocsparse_direction_NS_24const_host_device_scalarIT2_EEPKiS6_PKS3_iiS8_S4_PS3_21rocsparse_index_base_b,comdat
.Lfunc_end64:
	.size	_ZN9rocsparseL22gebsrmvn_mxn_16_kernelILj80ELj16ELj5EdEEvi20rocsparse_direction_NS_24const_host_device_scalarIT2_EEPKiS6_PKS3_iiS8_S4_PS3_21rocsparse_index_base_b, .Lfunc_end64-_ZN9rocsparseL22gebsrmvn_mxn_16_kernelILj80ELj16ELj5EdEEvi20rocsparse_direction_NS_24const_host_device_scalarIT2_EEPKiS6_PKS3_iiS8_S4_PS3_21rocsparse_index_base_b
                                        ; -- End function
	.set _ZN9rocsparseL22gebsrmvn_mxn_16_kernelILj80ELj16ELj5EdEEvi20rocsparse_direction_NS_24const_host_device_scalarIT2_EEPKiS6_PKS3_iiS8_S4_PS3_21rocsparse_index_base_b.num_vgpr, 16
	.set _ZN9rocsparseL22gebsrmvn_mxn_16_kernelILj80ELj16ELj5EdEEvi20rocsparse_direction_NS_24const_host_device_scalarIT2_EEPKiS6_PKS3_iiS8_S4_PS3_21rocsparse_index_base_b.num_agpr, 0
	.set _ZN9rocsparseL22gebsrmvn_mxn_16_kernelILj80ELj16ELj5EdEEvi20rocsparse_direction_NS_24const_host_device_scalarIT2_EEPKiS6_PKS3_iiS8_S4_PS3_21rocsparse_index_base_b.numbered_sgpr, 16
	.set _ZN9rocsparseL22gebsrmvn_mxn_16_kernelILj80ELj16ELj5EdEEvi20rocsparse_direction_NS_24const_host_device_scalarIT2_EEPKiS6_PKS3_iiS8_S4_PS3_21rocsparse_index_base_b.num_named_barrier, 0
	.set _ZN9rocsparseL22gebsrmvn_mxn_16_kernelILj80ELj16ELj5EdEEvi20rocsparse_direction_NS_24const_host_device_scalarIT2_EEPKiS6_PKS3_iiS8_S4_PS3_21rocsparse_index_base_b.private_seg_size, 0
	.set _ZN9rocsparseL22gebsrmvn_mxn_16_kernelILj80ELj16ELj5EdEEvi20rocsparse_direction_NS_24const_host_device_scalarIT2_EEPKiS6_PKS3_iiS8_S4_PS3_21rocsparse_index_base_b.uses_vcc, 1
	.set _ZN9rocsparseL22gebsrmvn_mxn_16_kernelILj80ELj16ELj5EdEEvi20rocsparse_direction_NS_24const_host_device_scalarIT2_EEPKiS6_PKS3_iiS8_S4_PS3_21rocsparse_index_base_b.uses_flat_scratch, 0
	.set _ZN9rocsparseL22gebsrmvn_mxn_16_kernelILj80ELj16ELj5EdEEvi20rocsparse_direction_NS_24const_host_device_scalarIT2_EEPKiS6_PKS3_iiS8_S4_PS3_21rocsparse_index_base_b.has_dyn_sized_stack, 0
	.set _ZN9rocsparseL22gebsrmvn_mxn_16_kernelILj80ELj16ELj5EdEEvi20rocsparse_direction_NS_24const_host_device_scalarIT2_EEPKiS6_PKS3_iiS8_S4_PS3_21rocsparse_index_base_b.has_recursion, 0
	.set _ZN9rocsparseL22gebsrmvn_mxn_16_kernelILj80ELj16ELj5EdEEvi20rocsparse_direction_NS_24const_host_device_scalarIT2_EEPKiS6_PKS3_iiS8_S4_PS3_21rocsparse_index_base_b.has_indirect_call, 0
	.section	.AMDGPU.csdata,"",@progbits
; Kernel info:
; codeLenInByte = 1100
; TotalNumSgprs: 18
; NumVgprs: 16
; ScratchSize: 0
; MemoryBound: 0
; FloatMode: 240
; IeeeMode: 1
; LDSByteSize: 640 bytes/workgroup (compile time only)
; SGPRBlocks: 0
; VGPRBlocks: 0
; NumSGPRsForWavesPerEU: 18
; NumVGPRsForWavesPerEU: 16
; NamedBarCnt: 0
; Occupancy: 16
; WaveLimiterHint : 1
; COMPUTE_PGM_RSRC2:SCRATCH_EN: 0
; COMPUTE_PGM_RSRC2:USER_SGPR: 2
; COMPUTE_PGM_RSRC2:TRAP_HANDLER: 0
; COMPUTE_PGM_RSRC2:TGID_X_EN: 1
; COMPUTE_PGM_RSRC2:TGID_Y_EN: 0
; COMPUTE_PGM_RSRC2:TGID_Z_EN: 0
; COMPUTE_PGM_RSRC2:TIDIG_COMP_CNT: 0
	.section	.text._ZN9rocsparseL22gebsrmvn_mxn_16_kernelILj96ELj16ELj6EdEEvi20rocsparse_direction_NS_24const_host_device_scalarIT2_EEPKiS6_PKS3_iiS8_S4_PS3_21rocsparse_index_base_b,"axG",@progbits,_ZN9rocsparseL22gebsrmvn_mxn_16_kernelILj96ELj16ELj6EdEEvi20rocsparse_direction_NS_24const_host_device_scalarIT2_EEPKiS6_PKS3_iiS8_S4_PS3_21rocsparse_index_base_b,comdat
	.globl	_ZN9rocsparseL22gebsrmvn_mxn_16_kernelILj96ELj16ELj6EdEEvi20rocsparse_direction_NS_24const_host_device_scalarIT2_EEPKiS6_PKS3_iiS8_S4_PS3_21rocsparse_index_base_b ; -- Begin function _ZN9rocsparseL22gebsrmvn_mxn_16_kernelILj96ELj16ELj6EdEEvi20rocsparse_direction_NS_24const_host_device_scalarIT2_EEPKiS6_PKS3_iiS8_S4_PS3_21rocsparse_index_base_b
	.p2align	8
	.type	_ZN9rocsparseL22gebsrmvn_mxn_16_kernelILj96ELj16ELj6EdEEvi20rocsparse_direction_NS_24const_host_device_scalarIT2_EEPKiS6_PKS3_iiS8_S4_PS3_21rocsparse_index_base_b,@function
_ZN9rocsparseL22gebsrmvn_mxn_16_kernelILj96ELj16ELj6EdEEvi20rocsparse_direction_NS_24const_host_device_scalarIT2_EEPKiS6_PKS3_iiS8_S4_PS3_21rocsparse_index_base_b: ; @_ZN9rocsparseL22gebsrmvn_mxn_16_kernelILj96ELj16ELj6EdEEvi20rocsparse_direction_NS_24const_host_device_scalarIT2_EEPKiS6_PKS3_iiS8_S4_PS3_21rocsparse_index_base_b
; %bb.0:
	s_clause 0x2
	s_load_b64 s[10:11], s[0:1], 0x48
	s_load_b64 s[4:5], s[0:1], 0x8
	;; [unrolled: 1-line block ×3, first 2 shown]
	s_wait_kmcnt 0x0
	s_bitcmp1_b32 s11, 0
	v_mov_b64_e32 v[4:5], s[4:5]
	s_cselect_b32 s6, -1, 0
	s_delay_alu instid0(SALU_CYCLE_1)
	s_and_b32 vcc_lo, exec_lo, s6
	s_xor_b32 s6, s6, -1
	s_cbranch_vccnz .LBB65_2
; %bb.1:
	v_mov_b32_e32 v1, 0
	flat_load_b64 v[4:5], v1, s[4:5]
.LBB65_2:
	v_mov_b64_e32 v[2:3], s[2:3]
	s_and_not1_b32 vcc_lo, exec_lo, s6
	s_cbranch_vccnz .LBB65_4
; %bb.3:
	s_wait_xcnt 0x0
	v_mov_b32_e32 v1, 0
	flat_load_b64 v[2:3], v1, s[2:3]
.LBB65_4:
	s_wait_loadcnt_dscnt 0x0
	v_cmp_neq_f64_e32 vcc_lo, 0, v[4:5]
	s_delay_alu instid0(VALU_DEP_2) | instskip(SKIP_1) | instid1(SALU_CYCLE_1)
	v_cmp_neq_f64_e64 s2, 1.0, v[2:3]
	s_or_b32 s2, vcc_lo, s2
	s_and_saveexec_b32 s3, s2
	s_cbranch_execz .LBB65_35
; %bb.5:
	s_clause 0x1
	s_load_b32 s4, s[0:1], 0x4
	s_load_b64 s[2:3], s[0:1], 0x10
	s_bfe_u32 s5, ttmp6, 0x4000c
	s_and_b32 s6, ttmp6, 15
	s_add_co_i32 s5, s5, 1
	s_getreg_b32 s7, hwreg(HW_REG_IB_STS2, 6, 4)
	s_mul_i32 s5, ttmp9, s5
	v_mul_u32_u24_e32 v1, 0x2aab, v0
	s_add_co_i32 s6, s6, s5
	s_cmp_eq_u32 s7, 0
	v_mov_b64_e32 v[6:7], 0
	s_cselect_b32 s8, ttmp9, s6
	v_lshrrev_b32_e32 v1, 16, v1
	s_delay_alu instid0(VALU_DEP_1) | instskip(SKIP_2) | instid1(VALU_DEP_1)
	v_mul_lo_u16 v1, v1, 6
	s_wait_kmcnt 0x0
	s_cmp_eq_u32 s4, 1
	v_sub_nc_u16 v8, v0, v1
	s_cselect_b32 vcc_lo, -1, 0
	s_cmp_lg_u32 s4, 1
	s_cselect_b32 s11, -1, 0
	s_ashr_i32 s9, s8, 31
	s_delay_alu instid0(SALU_CYCLE_1) | instskip(NEXT) | instid1(SALU_CYCLE_1)
	s_lshl_b64 s[4:5], s[8:9], 2
	s_add_nc_u64 s[4:5], s[2:3], s[4:5]
	s_load_b64 s[14:15], s[4:5], 0x0
	s_load_b64 s[2:3], s[0:1], 0x40
	s_wait_kmcnt 0x0
	s_cmp_ge_i32 s14, s15
	s_cbranch_scc1 .LBB65_10
; %bb.6:
	v_lshrrev_b32_e32 v1, 4, v0
	s_clause 0x1
	s_load_b128 s[4:7], s[0:1], 0x18
	s_load_b64 s[12:13], s[0:1], 0x30
	v_mad_u32 v10, 0x60, s14, v0
	v_and_b32_e32 v7, 0xffff, v0
	v_and_b32_e32 v9, 0xffff, v8
	v_mul_lo_u16 v6, v1, 43
	s_wait_xcnt 0x0
	s_mul_i32 s0, s10, 0x60
	s_sub_co_i32 s1, s14, s10
	v_mul_u32_u24_e32 v11, 0x2ab, v7
	v_lshrrev_b16 v6, 8, v6
	v_subrev_nc_u32_e32 v10, s0, v10
	s_sub_co_i32 s0, s15, s10
	s_delay_alu instid0(VALU_DEP_2) | instskip(NEXT) | instid1(VALU_DEP_1)
	v_mul_lo_u16 v6, v6, 6
	v_sub_nc_u16 v1, v1, v6
	v_mov_b64_e32 v[6:7], 0
	s_delay_alu instid0(VALU_DEP_2) | instskip(NEXT) | instid1(VALU_DEP_1)
	v_and_b32_e32 v12, 0xff, v1
	v_dual_lshrrev_b32 v1, 16, v11 :: v_dual_cndmask_b32 v9, v9, v12, vcc_lo
	s_branch .LBB65_8
.LBB65_7:                               ;   in Loop: Header=BB65_8 Depth=1
	s_or_b32 exec_lo, exec_lo, s9
	v_add_nc_u32_e32 v10, 0x60, v10
	s_add_co_i32 s1, s1, 1
	s_delay_alu instid0(SALU_CYCLE_1)
	s_cmp_ge_i32 s1, s0
	s_cbranch_scc1 .LBB65_10
.LBB65_8:                               ; =>This Inner Loop Header: Depth=1
	s_delay_alu instid0(VALU_DEP_1) | instskip(SKIP_1) | instid1(VALU_DEP_1)
	v_add_nc_u32_e32 v11, s1, v1
	s_mov_b32 s9, exec_lo
	v_cmpx_gt_i32_e64 s0, v11
	s_cbranch_execz .LBB65_7
; %bb.9:                                ;   in Loop: Header=BB65_8 Depth=1
	s_wait_kmcnt 0x0
	global_load_b32 v11, v11, s[4:5] scale_offset
	s_wait_loadcnt 0x0
	v_subrev_nc_u32_e32 v11, s10, v11
	s_delay_alu instid0(VALU_DEP_1)
	v_mad_u32 v11, v11, 6, v9
	global_load_b64 v[12:13], v10, s[6:7] scale_offset
	global_load_b64 v[14:15], v11, s[12:13] scale_offset
	s_wait_loadcnt 0x0
	v_fmac_f64_e32 v[6:7], v[12:13], v[14:15]
	s_branch .LBB65_7
.LBB65_10:
	v_lshlrev_b32_e32 v1, 3, v0
	s_and_b32 vcc_lo, exec_lo, s11
	ds_store_b64 v1, v[6:7]
	s_wait_dscnt 0x0
	s_barrier_signal -1
	s_barrier_wait -1
	s_cbranch_vccz .LBB65_20
; %bb.11:
	v_cmp_gt_u16_e32 vcc_lo, 2, v8
	s_and_saveexec_b32 s0, vcc_lo
	s_cbranch_execz .LBB65_13
; %bb.12:
	ds_load_2addr_b64 v[10:13], v1 offset1:4
	s_wait_dscnt 0x0
	v_add_f64_e32 v[10:11], v[12:13], v[10:11]
	ds_store_b64 v1, v[10:11]
.LBB65_13:
	s_or_b32 exec_lo, exec_lo, s0
	s_wait_dscnt 0x0
	s_barrier_signal -1
	s_barrier_wait -1
	s_and_saveexec_b32 s0, vcc_lo
	s_cbranch_execz .LBB65_15
; %bb.14:
	ds_load_2addr_b64 v[10:13], v1 offset1:2
	s_wait_dscnt 0x0
	v_add_f64_e32 v[10:11], v[12:13], v[10:11]
	ds_store_b64 v1, v[10:11]
.LBB65_15:
	s_or_b32 exec_lo, exec_lo, s0
	s_delay_alu instid0(SALU_CYCLE_1)
	s_mov_b32 s0, exec_lo
	s_wait_dscnt 0x0
	s_barrier_signal -1
	s_barrier_wait -1
	v_cmpx_eq_u16_e32 0, v8
	s_cbranch_execz .LBB65_17
; %bb.16:
	ds_load_2addr_b64 v[8:11], v1 offset1:1
	s_wait_dscnt 0x0
	v_add_f64_e32 v[8:9], v[10:11], v[8:9]
	ds_store_b64 v1, v[8:9]
.LBB65_17:
	s_or_b32 exec_lo, exec_lo, s0
	v_mov_b64_e32 v[8:9], v[6:7]
	s_mov_b32 s0, exec_lo
	s_wait_dscnt 0x0
	s_barrier_signal -1
	s_barrier_wait -1
	v_cmpx_gt_u32_e32 16, v0
; %bb.18:
	v_mad_u32_u24 v8, v0, 40, v1
	ds_load_b64 v[8:9], v8
; %bb.19:
	s_or_b32 exec_lo, exec_lo, s0
	s_branch .LBB65_30
.LBB65_20:
                                        ; implicit-def: $vgpr8_vgpr9
	s_cbranch_execz .LBB65_30
; %bb.21:
	v_cmp_gt_u32_e32 vcc_lo, 32, v0
	s_and_saveexec_b32 s0, vcc_lo
	s_cbranch_execz .LBB65_23
; %bb.22:
	s_wait_dscnt 0x0
	ds_load_2addr_stride64_b64 v[8:11], v1 offset1:1
	s_wait_dscnt 0x0
	v_add_f64_e32 v[8:9], v[10:11], v[8:9]
	ds_store_b64 v1, v[8:9]
.LBB65_23:
	s_or_b32 exec_lo, exec_lo, s0
	s_wait_dscnt 0x0
	s_barrier_signal -1
	s_barrier_wait -1
	s_and_saveexec_b32 s0, vcc_lo
	s_cbranch_execz .LBB65_25
; %bb.24:
	ds_load_2addr_b64 v[8:11], v1 offset1:32
	s_wait_dscnt 0x0
	v_add_f64_e32 v[8:9], v[10:11], v[8:9]
	ds_store_b64 v1, v[8:9]
.LBB65_25:
	s_or_b32 exec_lo, exec_lo, s0
	s_delay_alu instid0(SALU_CYCLE_1)
	s_mov_b32 s0, exec_lo
	s_wait_dscnt 0x0
	v_cmpx_lt_u32_e32 15, v0
	s_xor_b32 s0, exec_lo, s0
; %bb.26:
                                        ; implicit-def: $vgpr1
; %bb.27:
	s_delay_alu instid0(SALU_CYCLE_1)
	s_and_not1_saveexec_b32 s0, s0
	s_cbranch_execz .LBB65_29
; %bb.28:
	ds_load_2addr_b64 v[6:9], v1 offset1:16
	s_wait_dscnt 0x0
	v_add_f64_e32 v[6:7], v[8:9], v[6:7]
	ds_store_b64 v1, v[6:7]
	s_wait_dscnt 0x0
	ds_load_b64 v[6:7], v1
.LBB65_29:
	s_or_b32 exec_lo, exec_lo, s0
	s_wait_dscnt 0x0
	v_mov_b64_e32 v[8:9], v[6:7]
.LBB65_30:
	v_cmp_gt_u32_e32 vcc_lo, 16, v0
	s_and_b32 exec_lo, exec_lo, vcc_lo
	s_cbranch_execz .LBB65_35
; %bb.31:
	s_wait_dscnt 0x0
	s_delay_alu instid0(VALU_DEP_2)
	v_mul_f64_e32 v[4:5], v[4:5], v[8:9]
	v_lshl_or_b32 v0, s8, 4, v0
	s_mov_b32 s0, exec_lo
	v_cmpx_eq_f64_e32 0, v[2:3]
	s_xor_b32 s0, exec_lo, s0
	s_cbranch_execz .LBB65_33
; %bb.32:
	global_store_b64 v0, v[4:5], s[2:3] scale_offset
                                        ; implicit-def: $vgpr0
                                        ; implicit-def: $vgpr2_vgpr3
                                        ; implicit-def: $vgpr4_vgpr5
.LBB65_33:
	s_wait_xcnt 0x0
	s_and_not1_saveexec_b32 s0, s0
	s_cbranch_execz .LBB65_35
; %bb.34:
	global_load_b64 v[6:7], v0, s[2:3] scale_offset
	s_wait_loadcnt 0x0
	v_fmac_f64_e32 v[4:5], v[2:3], v[6:7]
	global_store_b64 v0, v[4:5], s[2:3] scale_offset
.LBB65_35:
	s_endpgm
	.section	.rodata,"a",@progbits
	.p2align	6, 0x0
	.amdhsa_kernel _ZN9rocsparseL22gebsrmvn_mxn_16_kernelILj96ELj16ELj6EdEEvi20rocsparse_direction_NS_24const_host_device_scalarIT2_EEPKiS6_PKS3_iiS8_S4_PS3_21rocsparse_index_base_b
		.amdhsa_group_segment_fixed_size 768
		.amdhsa_private_segment_fixed_size 0
		.amdhsa_kernarg_size 80
		.amdhsa_user_sgpr_count 2
		.amdhsa_user_sgpr_dispatch_ptr 0
		.amdhsa_user_sgpr_queue_ptr 0
		.amdhsa_user_sgpr_kernarg_segment_ptr 1
		.amdhsa_user_sgpr_dispatch_id 0
		.amdhsa_user_sgpr_kernarg_preload_length 0
		.amdhsa_user_sgpr_kernarg_preload_offset 0
		.amdhsa_user_sgpr_private_segment_size 0
		.amdhsa_wavefront_size32 1
		.amdhsa_uses_dynamic_stack 0
		.amdhsa_enable_private_segment 0
		.amdhsa_system_sgpr_workgroup_id_x 1
		.amdhsa_system_sgpr_workgroup_id_y 0
		.amdhsa_system_sgpr_workgroup_id_z 0
		.amdhsa_system_sgpr_workgroup_info 0
		.amdhsa_system_vgpr_workitem_id 0
		.amdhsa_next_free_vgpr 16
		.amdhsa_next_free_sgpr 16
		.amdhsa_named_barrier_count 0
		.amdhsa_reserve_vcc 1
		.amdhsa_float_round_mode_32 0
		.amdhsa_float_round_mode_16_64 0
		.amdhsa_float_denorm_mode_32 3
		.amdhsa_float_denorm_mode_16_64 3
		.amdhsa_fp16_overflow 0
		.amdhsa_memory_ordered 1
		.amdhsa_forward_progress 1
		.amdhsa_inst_pref_size 9
		.amdhsa_round_robin_scheduling 0
		.amdhsa_exception_fp_ieee_invalid_op 0
		.amdhsa_exception_fp_denorm_src 0
		.amdhsa_exception_fp_ieee_div_zero 0
		.amdhsa_exception_fp_ieee_overflow 0
		.amdhsa_exception_fp_ieee_underflow 0
		.amdhsa_exception_fp_ieee_inexact 0
		.amdhsa_exception_int_div_zero 0
	.end_amdhsa_kernel
	.section	.text._ZN9rocsparseL22gebsrmvn_mxn_16_kernelILj96ELj16ELj6EdEEvi20rocsparse_direction_NS_24const_host_device_scalarIT2_EEPKiS6_PKS3_iiS8_S4_PS3_21rocsparse_index_base_b,"axG",@progbits,_ZN9rocsparseL22gebsrmvn_mxn_16_kernelILj96ELj16ELj6EdEEvi20rocsparse_direction_NS_24const_host_device_scalarIT2_EEPKiS6_PKS3_iiS8_S4_PS3_21rocsparse_index_base_b,comdat
.Lfunc_end65:
	.size	_ZN9rocsparseL22gebsrmvn_mxn_16_kernelILj96ELj16ELj6EdEEvi20rocsparse_direction_NS_24const_host_device_scalarIT2_EEPKiS6_PKS3_iiS8_S4_PS3_21rocsparse_index_base_b, .Lfunc_end65-_ZN9rocsparseL22gebsrmvn_mxn_16_kernelILj96ELj16ELj6EdEEvi20rocsparse_direction_NS_24const_host_device_scalarIT2_EEPKiS6_PKS3_iiS8_S4_PS3_21rocsparse_index_base_b
                                        ; -- End function
	.set _ZN9rocsparseL22gebsrmvn_mxn_16_kernelILj96ELj16ELj6EdEEvi20rocsparse_direction_NS_24const_host_device_scalarIT2_EEPKiS6_PKS3_iiS8_S4_PS3_21rocsparse_index_base_b.num_vgpr, 16
	.set _ZN9rocsparseL22gebsrmvn_mxn_16_kernelILj96ELj16ELj6EdEEvi20rocsparse_direction_NS_24const_host_device_scalarIT2_EEPKiS6_PKS3_iiS8_S4_PS3_21rocsparse_index_base_b.num_agpr, 0
	.set _ZN9rocsparseL22gebsrmvn_mxn_16_kernelILj96ELj16ELj6EdEEvi20rocsparse_direction_NS_24const_host_device_scalarIT2_EEPKiS6_PKS3_iiS8_S4_PS3_21rocsparse_index_base_b.numbered_sgpr, 16
	.set _ZN9rocsparseL22gebsrmvn_mxn_16_kernelILj96ELj16ELj6EdEEvi20rocsparse_direction_NS_24const_host_device_scalarIT2_EEPKiS6_PKS3_iiS8_S4_PS3_21rocsparse_index_base_b.num_named_barrier, 0
	.set _ZN9rocsparseL22gebsrmvn_mxn_16_kernelILj96ELj16ELj6EdEEvi20rocsparse_direction_NS_24const_host_device_scalarIT2_EEPKiS6_PKS3_iiS8_S4_PS3_21rocsparse_index_base_b.private_seg_size, 0
	.set _ZN9rocsparseL22gebsrmvn_mxn_16_kernelILj96ELj16ELj6EdEEvi20rocsparse_direction_NS_24const_host_device_scalarIT2_EEPKiS6_PKS3_iiS8_S4_PS3_21rocsparse_index_base_b.uses_vcc, 1
	.set _ZN9rocsparseL22gebsrmvn_mxn_16_kernelILj96ELj16ELj6EdEEvi20rocsparse_direction_NS_24const_host_device_scalarIT2_EEPKiS6_PKS3_iiS8_S4_PS3_21rocsparse_index_base_b.uses_flat_scratch, 0
	.set _ZN9rocsparseL22gebsrmvn_mxn_16_kernelILj96ELj16ELj6EdEEvi20rocsparse_direction_NS_24const_host_device_scalarIT2_EEPKiS6_PKS3_iiS8_S4_PS3_21rocsparse_index_base_b.has_dyn_sized_stack, 0
	.set _ZN9rocsparseL22gebsrmvn_mxn_16_kernelILj96ELj16ELj6EdEEvi20rocsparse_direction_NS_24const_host_device_scalarIT2_EEPKiS6_PKS3_iiS8_S4_PS3_21rocsparse_index_base_b.has_recursion, 0
	.set _ZN9rocsparseL22gebsrmvn_mxn_16_kernelILj96ELj16ELj6EdEEvi20rocsparse_direction_NS_24const_host_device_scalarIT2_EEPKiS6_PKS3_iiS8_S4_PS3_21rocsparse_index_base_b.has_indirect_call, 0
	.section	.AMDGPU.csdata,"",@progbits
; Kernel info:
; codeLenInByte = 1080
; TotalNumSgprs: 18
; NumVgprs: 16
; ScratchSize: 0
; MemoryBound: 0
; FloatMode: 240
; IeeeMode: 1
; LDSByteSize: 768 bytes/workgroup (compile time only)
; SGPRBlocks: 0
; VGPRBlocks: 0
; NumSGPRsForWavesPerEU: 18
; NumVGPRsForWavesPerEU: 16
; NamedBarCnt: 0
; Occupancy: 16
; WaveLimiterHint : 1
; COMPUTE_PGM_RSRC2:SCRATCH_EN: 0
; COMPUTE_PGM_RSRC2:USER_SGPR: 2
; COMPUTE_PGM_RSRC2:TRAP_HANDLER: 0
; COMPUTE_PGM_RSRC2:TGID_X_EN: 1
; COMPUTE_PGM_RSRC2:TGID_Y_EN: 0
; COMPUTE_PGM_RSRC2:TGID_Z_EN: 0
; COMPUTE_PGM_RSRC2:TIDIG_COMP_CNT: 0
	.section	.text._ZN9rocsparseL22gebsrmvn_mxn_16_kernelILj112ELj16ELj7EdEEvi20rocsparse_direction_NS_24const_host_device_scalarIT2_EEPKiS6_PKS3_iiS8_S4_PS3_21rocsparse_index_base_b,"axG",@progbits,_ZN9rocsparseL22gebsrmvn_mxn_16_kernelILj112ELj16ELj7EdEEvi20rocsparse_direction_NS_24const_host_device_scalarIT2_EEPKiS6_PKS3_iiS8_S4_PS3_21rocsparse_index_base_b,comdat
	.globl	_ZN9rocsparseL22gebsrmvn_mxn_16_kernelILj112ELj16ELj7EdEEvi20rocsparse_direction_NS_24const_host_device_scalarIT2_EEPKiS6_PKS3_iiS8_S4_PS3_21rocsparse_index_base_b ; -- Begin function _ZN9rocsparseL22gebsrmvn_mxn_16_kernelILj112ELj16ELj7EdEEvi20rocsparse_direction_NS_24const_host_device_scalarIT2_EEPKiS6_PKS3_iiS8_S4_PS3_21rocsparse_index_base_b
	.p2align	8
	.type	_ZN9rocsparseL22gebsrmvn_mxn_16_kernelILj112ELj16ELj7EdEEvi20rocsparse_direction_NS_24const_host_device_scalarIT2_EEPKiS6_PKS3_iiS8_S4_PS3_21rocsparse_index_base_b,@function
_ZN9rocsparseL22gebsrmvn_mxn_16_kernelILj112ELj16ELj7EdEEvi20rocsparse_direction_NS_24const_host_device_scalarIT2_EEPKiS6_PKS3_iiS8_S4_PS3_21rocsparse_index_base_b: ; @_ZN9rocsparseL22gebsrmvn_mxn_16_kernelILj112ELj16ELj7EdEEvi20rocsparse_direction_NS_24const_host_device_scalarIT2_EEPKiS6_PKS3_iiS8_S4_PS3_21rocsparse_index_base_b
; %bb.0:
	s_clause 0x2
	s_load_b64 s[10:11], s[0:1], 0x48
	s_load_b64 s[4:5], s[0:1], 0x8
	s_load_b64 s[2:3], s[0:1], 0x38
	s_wait_kmcnt 0x0
	s_bitcmp1_b32 s11, 0
	v_mov_b64_e32 v[4:5], s[4:5]
	s_cselect_b32 s6, -1, 0
	s_delay_alu instid0(SALU_CYCLE_1)
	s_and_b32 vcc_lo, exec_lo, s6
	s_xor_b32 s6, s6, -1
	s_cbranch_vccnz .LBB66_2
; %bb.1:
	v_mov_b32_e32 v1, 0
	flat_load_b64 v[4:5], v1, s[4:5]
.LBB66_2:
	v_mov_b64_e32 v[2:3], s[2:3]
	s_and_not1_b32 vcc_lo, exec_lo, s6
	s_cbranch_vccnz .LBB66_4
; %bb.3:
	s_wait_xcnt 0x0
	v_mov_b32_e32 v1, 0
	flat_load_b64 v[2:3], v1, s[2:3]
.LBB66_4:
	s_wait_loadcnt_dscnt 0x0
	v_cmp_neq_f64_e32 vcc_lo, 0, v[4:5]
	s_delay_alu instid0(VALU_DEP_2) | instskip(SKIP_1) | instid1(SALU_CYCLE_1)
	v_cmp_neq_f64_e64 s2, 1.0, v[2:3]
	s_or_b32 s2, vcc_lo, s2
	s_and_saveexec_b32 s3, s2
	s_cbranch_execz .LBB66_35
; %bb.5:
	s_clause 0x1
	s_load_b32 s4, s[0:1], 0x4
	s_load_b64 s[2:3], s[0:1], 0x10
	s_bfe_u32 s5, ttmp6, 0x4000c
	s_and_b32 s6, ttmp6, 15
	s_add_co_i32 s5, s5, 1
	s_getreg_b32 s7, hwreg(HW_REG_IB_STS2, 6, 4)
	s_mul_i32 s5, ttmp9, s5
	v_mul_u32_u24_e32 v1, 0x2493, v0
	s_add_co_i32 s6, s6, s5
	s_cmp_eq_u32 s7, 0
	v_mov_b64_e32 v[6:7], 0
	s_cselect_b32 s8, ttmp9, s6
	v_lshrrev_b32_e32 v1, 16, v1
	s_delay_alu instid0(VALU_DEP_1) | instskip(SKIP_2) | instid1(VALU_DEP_1)
	v_mul_lo_u16 v1, v1, 7
	s_wait_kmcnt 0x0
	s_cmp_eq_u32 s4, 1
	v_sub_nc_u16 v8, v0, v1
	s_cselect_b32 vcc_lo, -1, 0
	s_cmp_lg_u32 s4, 1
	s_cselect_b32 s11, -1, 0
	s_ashr_i32 s9, s8, 31
	s_delay_alu instid0(SALU_CYCLE_1) | instskip(NEXT) | instid1(SALU_CYCLE_1)
	s_lshl_b64 s[4:5], s[8:9], 2
	s_add_nc_u64 s[4:5], s[2:3], s[4:5]
	s_load_b64 s[14:15], s[4:5], 0x0
	s_load_b64 s[2:3], s[0:1], 0x40
	s_wait_kmcnt 0x0
	s_cmp_ge_i32 s14, s15
	s_cbranch_scc1 .LBB66_10
; %bb.6:
	v_lshrrev_b32_e32 v1, 4, v0
	s_clause 0x1
	s_load_b128 s[4:7], s[0:1], 0x18
	s_load_b64 s[12:13], s[0:1], 0x30
	v_mad_u32 v10, 0x70, s14, v0
	v_and_b32_e32 v7, 0xffff, v0
	v_and_b32_e32 v9, 0xffff, v8
	v_mul_lo_u16 v6, v1, 37
	s_wait_xcnt 0x0
	s_mul_i32 s0, s10, 0x70
	s_sub_co_i32 s1, s14, s10
	v_mul_u32_u24_e32 v11, 0x24a, v7
	v_lshrrev_b16 v6, 8, v6
	v_subrev_nc_u32_e32 v10, s0, v10
	s_sub_co_i32 s0, s15, s10
	s_delay_alu instid0(VALU_DEP_2) | instskip(NEXT) | instid1(VALU_DEP_1)
	v_mul_lo_u16 v6, v6, 7
	v_sub_nc_u16 v1, v1, v6
	v_mov_b64_e32 v[6:7], 0
	s_delay_alu instid0(VALU_DEP_2) | instskip(NEXT) | instid1(VALU_DEP_1)
	v_and_b32_e32 v12, 0xff, v1
	v_dual_lshrrev_b32 v1, 16, v11 :: v_dual_cndmask_b32 v9, v9, v12, vcc_lo
	s_branch .LBB66_8
.LBB66_7:                               ;   in Loop: Header=BB66_8 Depth=1
	s_or_b32 exec_lo, exec_lo, s9
	v_add_nc_u32_e32 v10, 0x70, v10
	s_add_co_i32 s1, s1, 1
	s_delay_alu instid0(SALU_CYCLE_1)
	s_cmp_ge_i32 s1, s0
	s_cbranch_scc1 .LBB66_10
.LBB66_8:                               ; =>This Inner Loop Header: Depth=1
	s_delay_alu instid0(VALU_DEP_1) | instskip(SKIP_1) | instid1(VALU_DEP_1)
	v_add_nc_u32_e32 v11, s1, v1
	s_mov_b32 s9, exec_lo
	v_cmpx_gt_i32_e64 s0, v11
	s_cbranch_execz .LBB66_7
; %bb.9:                                ;   in Loop: Header=BB66_8 Depth=1
	s_wait_kmcnt 0x0
	global_load_b32 v11, v11, s[4:5] scale_offset
	s_wait_loadcnt 0x0
	v_subrev_nc_u32_e32 v11, s10, v11
	s_delay_alu instid0(VALU_DEP_1)
	v_mad_u32 v11, v11, 7, v9
	global_load_b64 v[12:13], v10, s[6:7] scale_offset
	global_load_b64 v[14:15], v11, s[12:13] scale_offset
	s_wait_loadcnt 0x0
	v_fmac_f64_e32 v[6:7], v[12:13], v[14:15]
	s_branch .LBB66_7
.LBB66_10:
	v_lshlrev_b32_e32 v1, 3, v0
	s_and_b32 vcc_lo, exec_lo, s11
	ds_store_b64 v1, v[6:7]
	s_wait_dscnt 0x0
	s_barrier_signal -1
	s_barrier_wait -1
	s_cbranch_vccz .LBB66_20
; %bb.11:
	s_mov_b32 s0, exec_lo
	v_cmpx_gt_u16_e32 3, v8
	s_cbranch_execz .LBB66_13
; %bb.12:
	ds_load_2addr_b64 v[10:13], v1 offset1:4
	s_wait_dscnt 0x0
	v_add_f64_e32 v[10:11], v[12:13], v[10:11]
	ds_store_b64 v1, v[10:11]
.LBB66_13:
	s_or_b32 exec_lo, exec_lo, s0
	s_delay_alu instid0(SALU_CYCLE_1)
	s_mov_b32 s0, exec_lo
	s_wait_dscnt 0x0
	s_barrier_signal -1
	s_barrier_wait -1
	v_cmpx_gt_u16_e32 2, v8
	s_cbranch_execz .LBB66_15
; %bb.14:
	ds_load_2addr_b64 v[10:13], v1 offset1:2
	s_wait_dscnt 0x0
	v_add_f64_e32 v[10:11], v[12:13], v[10:11]
	ds_store_b64 v1, v[10:11]
.LBB66_15:
	s_or_b32 exec_lo, exec_lo, s0
	s_delay_alu instid0(SALU_CYCLE_1)
	s_mov_b32 s0, exec_lo
	s_wait_dscnt 0x0
	s_barrier_signal -1
	s_barrier_wait -1
	v_cmpx_eq_u16_e32 0, v8
	s_cbranch_execz .LBB66_17
; %bb.16:
	ds_load_2addr_b64 v[8:11], v1 offset1:1
	s_wait_dscnt 0x0
	v_add_f64_e32 v[8:9], v[10:11], v[8:9]
	ds_store_b64 v1, v[8:9]
.LBB66_17:
	s_or_b32 exec_lo, exec_lo, s0
	v_mov_b64_e32 v[8:9], v[6:7]
	s_mov_b32 s0, exec_lo
	s_wait_dscnt 0x0
	s_barrier_signal -1
	s_barrier_wait -1
	v_cmpx_gt_u32_e32 16, v0
; %bb.18:
	v_mad_u32_u24 v8, v0, 48, v1
	ds_load_b64 v[8:9], v8
; %bb.19:
	s_or_b32 exec_lo, exec_lo, s0
	s_branch .LBB66_30
.LBB66_20:
                                        ; implicit-def: $vgpr8_vgpr9
	s_cbranch_execz .LBB66_30
; %bb.21:
	s_mov_b32 s0, exec_lo
	v_cmpx_gt_u32_e32 48, v0
	s_cbranch_execz .LBB66_23
; %bb.22:
	s_wait_dscnt 0x0
	ds_load_2addr_stride64_b64 v[8:11], v1 offset1:1
	s_wait_dscnt 0x0
	v_add_f64_e32 v[8:9], v[10:11], v[8:9]
	ds_store_b64 v1, v[8:9]
.LBB66_23:
	s_or_b32 exec_lo, exec_lo, s0
	s_delay_alu instid0(SALU_CYCLE_1)
	s_mov_b32 s0, exec_lo
	s_wait_dscnt 0x0
	s_barrier_signal -1
	s_barrier_wait -1
	v_cmpx_gt_u32_e32 32, v0
	s_cbranch_execz .LBB66_25
; %bb.24:
	ds_load_2addr_b64 v[8:11], v1 offset1:32
	s_wait_dscnt 0x0
	v_add_f64_e32 v[8:9], v[10:11], v[8:9]
	ds_store_b64 v1, v[8:9]
.LBB66_25:
	s_or_b32 exec_lo, exec_lo, s0
	s_delay_alu instid0(SALU_CYCLE_1)
	s_mov_b32 s0, exec_lo
	s_wait_dscnt 0x0
	v_cmpx_lt_u32_e32 15, v0
	s_xor_b32 s0, exec_lo, s0
; %bb.26:
                                        ; implicit-def: $vgpr1
; %bb.27:
	s_delay_alu instid0(SALU_CYCLE_1)
	s_and_not1_saveexec_b32 s0, s0
	s_cbranch_execz .LBB66_29
; %bb.28:
	ds_load_2addr_b64 v[6:9], v1 offset1:16
	s_wait_dscnt 0x0
	v_add_f64_e32 v[6:7], v[8:9], v[6:7]
	ds_store_b64 v1, v[6:7]
	s_wait_dscnt 0x0
	ds_load_b64 v[6:7], v1
.LBB66_29:
	s_or_b32 exec_lo, exec_lo, s0
	s_wait_dscnt 0x0
	v_mov_b64_e32 v[8:9], v[6:7]
.LBB66_30:
	v_cmp_gt_u32_e32 vcc_lo, 16, v0
	s_and_b32 exec_lo, exec_lo, vcc_lo
	s_cbranch_execz .LBB66_35
; %bb.31:
	s_wait_dscnt 0x0
	s_delay_alu instid0(VALU_DEP_2)
	v_mul_f64_e32 v[4:5], v[4:5], v[8:9]
	v_lshl_or_b32 v0, s8, 4, v0
	s_mov_b32 s0, exec_lo
	v_cmpx_eq_f64_e32 0, v[2:3]
	s_xor_b32 s0, exec_lo, s0
	s_cbranch_execz .LBB66_33
; %bb.32:
	global_store_b64 v0, v[4:5], s[2:3] scale_offset
                                        ; implicit-def: $vgpr0
                                        ; implicit-def: $vgpr2_vgpr3
                                        ; implicit-def: $vgpr4_vgpr5
.LBB66_33:
	s_wait_xcnt 0x0
	s_and_not1_saveexec_b32 s0, s0
	s_cbranch_execz .LBB66_35
; %bb.34:
	global_load_b64 v[6:7], v0, s[2:3] scale_offset
	s_wait_loadcnt 0x0
	v_fmac_f64_e32 v[4:5], v[2:3], v[6:7]
	global_store_b64 v0, v[4:5], s[2:3] scale_offset
.LBB66_35:
	s_endpgm
	.section	.rodata,"a",@progbits
	.p2align	6, 0x0
	.amdhsa_kernel _ZN9rocsparseL22gebsrmvn_mxn_16_kernelILj112ELj16ELj7EdEEvi20rocsparse_direction_NS_24const_host_device_scalarIT2_EEPKiS6_PKS3_iiS8_S4_PS3_21rocsparse_index_base_b
		.amdhsa_group_segment_fixed_size 896
		.amdhsa_private_segment_fixed_size 0
		.amdhsa_kernarg_size 80
		.amdhsa_user_sgpr_count 2
		.amdhsa_user_sgpr_dispatch_ptr 0
		.amdhsa_user_sgpr_queue_ptr 0
		.amdhsa_user_sgpr_kernarg_segment_ptr 1
		.amdhsa_user_sgpr_dispatch_id 0
		.amdhsa_user_sgpr_kernarg_preload_length 0
		.amdhsa_user_sgpr_kernarg_preload_offset 0
		.amdhsa_user_sgpr_private_segment_size 0
		.amdhsa_wavefront_size32 1
		.amdhsa_uses_dynamic_stack 0
		.amdhsa_enable_private_segment 0
		.amdhsa_system_sgpr_workgroup_id_x 1
		.amdhsa_system_sgpr_workgroup_id_y 0
		.amdhsa_system_sgpr_workgroup_id_z 0
		.amdhsa_system_sgpr_workgroup_info 0
		.amdhsa_system_vgpr_workitem_id 0
		.amdhsa_next_free_vgpr 16
		.amdhsa_next_free_sgpr 16
		.amdhsa_named_barrier_count 0
		.amdhsa_reserve_vcc 1
		.amdhsa_float_round_mode_32 0
		.amdhsa_float_round_mode_16_64 0
		.amdhsa_float_denorm_mode_32 3
		.amdhsa_float_denorm_mode_16_64 3
		.amdhsa_fp16_overflow 0
		.amdhsa_memory_ordered 1
		.amdhsa_forward_progress 1
		.amdhsa_inst_pref_size 9
		.amdhsa_round_robin_scheduling 0
		.amdhsa_exception_fp_ieee_invalid_op 0
		.amdhsa_exception_fp_denorm_src 0
		.amdhsa_exception_fp_ieee_div_zero 0
		.amdhsa_exception_fp_ieee_overflow 0
		.amdhsa_exception_fp_ieee_underflow 0
		.amdhsa_exception_fp_ieee_inexact 0
		.amdhsa_exception_int_div_zero 0
	.end_amdhsa_kernel
	.section	.text._ZN9rocsparseL22gebsrmvn_mxn_16_kernelILj112ELj16ELj7EdEEvi20rocsparse_direction_NS_24const_host_device_scalarIT2_EEPKiS6_PKS3_iiS8_S4_PS3_21rocsparse_index_base_b,"axG",@progbits,_ZN9rocsparseL22gebsrmvn_mxn_16_kernelILj112ELj16ELj7EdEEvi20rocsparse_direction_NS_24const_host_device_scalarIT2_EEPKiS6_PKS3_iiS8_S4_PS3_21rocsparse_index_base_b,comdat
.Lfunc_end66:
	.size	_ZN9rocsparseL22gebsrmvn_mxn_16_kernelILj112ELj16ELj7EdEEvi20rocsparse_direction_NS_24const_host_device_scalarIT2_EEPKiS6_PKS3_iiS8_S4_PS3_21rocsparse_index_base_b, .Lfunc_end66-_ZN9rocsparseL22gebsrmvn_mxn_16_kernelILj112ELj16ELj7EdEEvi20rocsparse_direction_NS_24const_host_device_scalarIT2_EEPKiS6_PKS3_iiS8_S4_PS3_21rocsparse_index_base_b
                                        ; -- End function
	.set _ZN9rocsparseL22gebsrmvn_mxn_16_kernelILj112ELj16ELj7EdEEvi20rocsparse_direction_NS_24const_host_device_scalarIT2_EEPKiS6_PKS3_iiS8_S4_PS3_21rocsparse_index_base_b.num_vgpr, 16
	.set _ZN9rocsparseL22gebsrmvn_mxn_16_kernelILj112ELj16ELj7EdEEvi20rocsparse_direction_NS_24const_host_device_scalarIT2_EEPKiS6_PKS3_iiS8_S4_PS3_21rocsparse_index_base_b.num_agpr, 0
	.set _ZN9rocsparseL22gebsrmvn_mxn_16_kernelILj112ELj16ELj7EdEEvi20rocsparse_direction_NS_24const_host_device_scalarIT2_EEPKiS6_PKS3_iiS8_S4_PS3_21rocsparse_index_base_b.numbered_sgpr, 16
	.set _ZN9rocsparseL22gebsrmvn_mxn_16_kernelILj112ELj16ELj7EdEEvi20rocsparse_direction_NS_24const_host_device_scalarIT2_EEPKiS6_PKS3_iiS8_S4_PS3_21rocsparse_index_base_b.num_named_barrier, 0
	.set _ZN9rocsparseL22gebsrmvn_mxn_16_kernelILj112ELj16ELj7EdEEvi20rocsparse_direction_NS_24const_host_device_scalarIT2_EEPKiS6_PKS3_iiS8_S4_PS3_21rocsparse_index_base_b.private_seg_size, 0
	.set _ZN9rocsparseL22gebsrmvn_mxn_16_kernelILj112ELj16ELj7EdEEvi20rocsparse_direction_NS_24const_host_device_scalarIT2_EEPKiS6_PKS3_iiS8_S4_PS3_21rocsparse_index_base_b.uses_vcc, 1
	.set _ZN9rocsparseL22gebsrmvn_mxn_16_kernelILj112ELj16ELj7EdEEvi20rocsparse_direction_NS_24const_host_device_scalarIT2_EEPKiS6_PKS3_iiS8_S4_PS3_21rocsparse_index_base_b.uses_flat_scratch, 0
	.set _ZN9rocsparseL22gebsrmvn_mxn_16_kernelILj112ELj16ELj7EdEEvi20rocsparse_direction_NS_24const_host_device_scalarIT2_EEPKiS6_PKS3_iiS8_S4_PS3_21rocsparse_index_base_b.has_dyn_sized_stack, 0
	.set _ZN9rocsparseL22gebsrmvn_mxn_16_kernelILj112ELj16ELj7EdEEvi20rocsparse_direction_NS_24const_host_device_scalarIT2_EEPKiS6_PKS3_iiS8_S4_PS3_21rocsparse_index_base_b.has_recursion, 0
	.set _ZN9rocsparseL22gebsrmvn_mxn_16_kernelILj112ELj16ELj7EdEEvi20rocsparse_direction_NS_24const_host_device_scalarIT2_EEPKiS6_PKS3_iiS8_S4_PS3_21rocsparse_index_base_b.has_indirect_call, 0
	.section	.AMDGPU.csdata,"",@progbits
; Kernel info:
; codeLenInByte = 1096
; TotalNumSgprs: 18
; NumVgprs: 16
; ScratchSize: 0
; MemoryBound: 0
; FloatMode: 240
; IeeeMode: 1
; LDSByteSize: 896 bytes/workgroup (compile time only)
; SGPRBlocks: 0
; VGPRBlocks: 0
; NumSGPRsForWavesPerEU: 18
; NumVGPRsForWavesPerEU: 16
; NamedBarCnt: 0
; Occupancy: 16
; WaveLimiterHint : 1
; COMPUTE_PGM_RSRC2:SCRATCH_EN: 0
; COMPUTE_PGM_RSRC2:USER_SGPR: 2
; COMPUTE_PGM_RSRC2:TRAP_HANDLER: 0
; COMPUTE_PGM_RSRC2:TGID_X_EN: 1
; COMPUTE_PGM_RSRC2:TGID_Y_EN: 0
; COMPUTE_PGM_RSRC2:TGID_Z_EN: 0
; COMPUTE_PGM_RSRC2:TIDIG_COMP_CNT: 0
	.section	.text._ZN9rocsparseL22gebsrmvn_mxn_16_kernelILj128ELj16ELj8EdEEvi20rocsparse_direction_NS_24const_host_device_scalarIT2_EEPKiS6_PKS3_iiS8_S4_PS3_21rocsparse_index_base_b,"axG",@progbits,_ZN9rocsparseL22gebsrmvn_mxn_16_kernelILj128ELj16ELj8EdEEvi20rocsparse_direction_NS_24const_host_device_scalarIT2_EEPKiS6_PKS3_iiS8_S4_PS3_21rocsparse_index_base_b,comdat
	.globl	_ZN9rocsparseL22gebsrmvn_mxn_16_kernelILj128ELj16ELj8EdEEvi20rocsparse_direction_NS_24const_host_device_scalarIT2_EEPKiS6_PKS3_iiS8_S4_PS3_21rocsparse_index_base_b ; -- Begin function _ZN9rocsparseL22gebsrmvn_mxn_16_kernelILj128ELj16ELj8EdEEvi20rocsparse_direction_NS_24const_host_device_scalarIT2_EEPKiS6_PKS3_iiS8_S4_PS3_21rocsparse_index_base_b
	.p2align	8
	.type	_ZN9rocsparseL22gebsrmvn_mxn_16_kernelILj128ELj16ELj8EdEEvi20rocsparse_direction_NS_24const_host_device_scalarIT2_EEPKiS6_PKS3_iiS8_S4_PS3_21rocsparse_index_base_b,@function
_ZN9rocsparseL22gebsrmvn_mxn_16_kernelILj128ELj16ELj8EdEEvi20rocsparse_direction_NS_24const_host_device_scalarIT2_EEPKiS6_PKS3_iiS8_S4_PS3_21rocsparse_index_base_b: ; @_ZN9rocsparseL22gebsrmvn_mxn_16_kernelILj128ELj16ELj8EdEEvi20rocsparse_direction_NS_24const_host_device_scalarIT2_EEPKiS6_PKS3_iiS8_S4_PS3_21rocsparse_index_base_b
; %bb.0:
	s_clause 0x2
	s_load_b64 s[10:11], s[0:1], 0x48
	s_load_b64 s[4:5], s[0:1], 0x8
	;; [unrolled: 1-line block ×3, first 2 shown]
	s_wait_kmcnt 0x0
	s_bitcmp1_b32 s11, 0
	v_mov_b64_e32 v[4:5], s[4:5]
	s_cselect_b32 s6, -1, 0
	s_delay_alu instid0(SALU_CYCLE_1)
	s_and_b32 vcc_lo, exec_lo, s6
	s_xor_b32 s6, s6, -1
	s_cbranch_vccnz .LBB67_2
; %bb.1:
	v_mov_b32_e32 v1, 0
	flat_load_b64 v[4:5], v1, s[4:5]
.LBB67_2:
	v_mov_b64_e32 v[2:3], s[2:3]
	s_and_not1_b32 vcc_lo, exec_lo, s6
	s_cbranch_vccnz .LBB67_4
; %bb.3:
	s_wait_xcnt 0x0
	v_mov_b32_e32 v1, 0
	flat_load_b64 v[2:3], v1, s[2:3]
.LBB67_4:
	s_wait_loadcnt_dscnt 0x0
	v_cmp_neq_f64_e32 vcc_lo, 0, v[4:5]
	s_delay_alu instid0(VALU_DEP_2) | instskip(SKIP_1) | instid1(SALU_CYCLE_1)
	v_cmp_neq_f64_e64 s2, 1.0, v[2:3]
	s_or_b32 s2, vcc_lo, s2
	s_and_saveexec_b32 s3, s2
	s_cbranch_execz .LBB67_35
; %bb.5:
	s_clause 0x1
	s_load_b32 s4, s[0:1], 0x4
	s_load_b64 s[2:3], s[0:1], 0x10
	s_bfe_u32 s5, ttmp6, 0x4000c
	s_and_b32 s6, ttmp6, 15
	s_add_co_i32 s5, s5, 1
	s_getreg_b32 s7, hwreg(HW_REG_IB_STS2, 6, 4)
	s_mul_i32 s5, ttmp9, s5
	v_mov_b64_e32 v[6:7], 0
	s_add_co_i32 s6, s6, s5
	s_cmp_eq_u32 s7, 0
	v_and_b32_e32 v8, 7, v0
	s_cselect_b32 s8, ttmp9, s6
	s_wait_kmcnt 0x0
	s_cmp_eq_u32 s4, 1
	s_cselect_b32 vcc_lo, -1, 0
	s_cmp_lg_u32 s4, 1
	s_cselect_b32 s11, -1, 0
	s_ashr_i32 s9, s8, 31
	s_delay_alu instid0(SALU_CYCLE_1) | instskip(NEXT) | instid1(SALU_CYCLE_1)
	s_lshl_b64 s[4:5], s[8:9], 2
	s_add_nc_u64 s[4:5], s[2:3], s[4:5]
	s_load_b64 s[14:15], s[4:5], 0x0
	s_load_b64 s[2:3], s[0:1], 0x40
	s_wait_kmcnt 0x0
	s_cmp_ge_i32 s14, s15
	s_cbranch_scc1 .LBB67_10
; %bb.6:
	s_clause 0x1
	s_load_b128 s[4:7], s[0:1], 0x18
	s_load_b64 s[12:13], s[0:1], 0x30
	v_lshrrev_b32_e32 v1, 4, v0
	v_lshl_or_b32 v9, s14, 7, v0
	s_wait_xcnt 0x0
	s_lshl_b32 s0, s10, 7
	v_mov_b64_e32 v[6:7], 0
	s_sub_co_i32 s1, s14, s10
	v_cndmask_b32_e32 v1, v8, v1, vcc_lo
	v_subrev_nc_u32_e32 v9, s0, v9
	s_sub_co_i32 s0, s15, s10
	s_branch .LBB67_8
.LBB67_7:                               ;   in Loop: Header=BB67_8 Depth=1
	s_or_b32 exec_lo, exec_lo, s9
	v_add_nc_u32_e32 v9, 0x80, v9
	s_add_co_i32 s1, s1, 1
	s_delay_alu instid0(SALU_CYCLE_1)
	s_cmp_ge_i32 s1, s0
	s_cbranch_scc1 .LBB67_10
.LBB67_8:                               ; =>This Inner Loop Header: Depth=1
	s_cmp_lt_i32 s1, s0
	s_cselect_b32 s14, -1, 0
	s_delay_alu instid0(SALU_CYCLE_1)
	s_and_saveexec_b32 s9, s14
	s_cbranch_execz .LBB67_7
; %bb.9:                                ;   in Loop: Header=BB67_8 Depth=1
	v_mov_b32_e32 v10, s1
	s_wait_kmcnt 0x0
	global_load_b32 v10, v10, s[4:5] scale_offset
	s_wait_loadcnt 0x0
	v_subrev_nc_u32_e32 v10, s10, v10
	s_delay_alu instid0(VALU_DEP_1)
	v_lshl_or_b32 v14, v10, 3, v1
	global_load_b64 v[10:11], v9, s[6:7] scale_offset
	global_load_b64 v[12:13], v14, s[12:13] scale_offset
	s_wait_loadcnt 0x0
	v_fmac_f64_e32 v[6:7], v[10:11], v[12:13]
	s_branch .LBB67_7
.LBB67_10:
	v_lshlrev_b32_e32 v1, 3, v0
	s_and_b32 vcc_lo, exec_lo, s11
	ds_store_b64 v1, v[6:7]
	s_wait_dscnt 0x0
	s_barrier_signal -1
	s_barrier_wait -1
	s_cbranch_vccz .LBB67_20
; %bb.11:
	s_mov_b32 s0, exec_lo
	v_cmpx_gt_u32_e32 4, v8
	s_cbranch_execz .LBB67_13
; %bb.12:
	ds_load_2addr_b64 v[10:13], v1 offset1:4
	s_wait_dscnt 0x0
	v_add_f64_e32 v[10:11], v[12:13], v[10:11]
	ds_store_b64 v1, v[10:11]
.LBB67_13:
	s_or_b32 exec_lo, exec_lo, s0
	s_delay_alu instid0(SALU_CYCLE_1)
	s_mov_b32 s0, exec_lo
	s_wait_dscnt 0x0
	s_barrier_signal -1
	s_barrier_wait -1
	v_cmpx_gt_u32_e32 2, v8
	s_cbranch_execz .LBB67_15
; %bb.14:
	ds_load_2addr_b64 v[10:13], v1 offset1:2
	s_wait_dscnt 0x0
	v_add_f64_e32 v[10:11], v[12:13], v[10:11]
	ds_store_b64 v1, v[10:11]
.LBB67_15:
	s_or_b32 exec_lo, exec_lo, s0
	s_delay_alu instid0(SALU_CYCLE_1)
	s_mov_b32 s0, exec_lo
	s_wait_dscnt 0x0
	s_barrier_signal -1
	s_barrier_wait -1
	v_cmpx_eq_u32_e32 0, v8
	s_cbranch_execz .LBB67_17
; %bb.16:
	ds_load_2addr_b64 v[8:11], v1 offset1:1
	s_wait_dscnt 0x0
	v_add_f64_e32 v[8:9], v[10:11], v[8:9]
	ds_store_b64 v1, v[8:9]
.LBB67_17:
	s_or_b32 exec_lo, exec_lo, s0
	v_mov_b64_e32 v[8:9], v[6:7]
	s_mov_b32 s0, exec_lo
	s_wait_dscnt 0x0
	s_barrier_signal -1
	s_barrier_wait -1
	v_cmpx_gt_u32_e32 16, v0
; %bb.18:
	v_mad_u32_u24 v8, v0, 56, v1
	ds_load_b64 v[8:9], v8
; %bb.19:
	s_or_b32 exec_lo, exec_lo, s0
	s_branch .LBB67_30
.LBB67_20:
                                        ; implicit-def: $vgpr8_vgpr9
	s_cbranch_execz .LBB67_30
; %bb.21:
	s_mov_b32 s0, exec_lo
	v_cmpx_gt_u32_e32 64, v0
	s_cbranch_execz .LBB67_23
; %bb.22:
	s_wait_dscnt 0x0
	ds_load_2addr_stride64_b64 v[8:11], v1 offset1:1
	s_wait_dscnt 0x0
	v_add_f64_e32 v[8:9], v[10:11], v[8:9]
	ds_store_b64 v1, v[8:9]
.LBB67_23:
	s_or_b32 exec_lo, exec_lo, s0
	s_delay_alu instid0(SALU_CYCLE_1)
	s_mov_b32 s0, exec_lo
	s_wait_dscnt 0x0
	s_barrier_signal -1
	s_barrier_wait -1
	v_cmpx_gt_u32_e32 32, v0
	s_cbranch_execz .LBB67_25
; %bb.24:
	ds_load_2addr_b64 v[8:11], v1 offset1:32
	s_wait_dscnt 0x0
	v_add_f64_e32 v[8:9], v[10:11], v[8:9]
	ds_store_b64 v1, v[8:9]
.LBB67_25:
	s_or_b32 exec_lo, exec_lo, s0
	s_delay_alu instid0(SALU_CYCLE_1)
	s_mov_b32 s0, exec_lo
	s_wait_dscnt 0x0
	v_cmpx_lt_u32_e32 15, v0
	s_xor_b32 s0, exec_lo, s0
; %bb.26:
                                        ; implicit-def: $vgpr1
; %bb.27:
	s_delay_alu instid0(SALU_CYCLE_1)
	s_and_not1_saveexec_b32 s0, s0
	s_cbranch_execz .LBB67_29
; %bb.28:
	ds_load_2addr_b64 v[6:9], v1 offset1:16
	s_wait_dscnt 0x0
	v_add_f64_e32 v[6:7], v[8:9], v[6:7]
	ds_store_b64 v1, v[6:7]
	s_wait_dscnt 0x0
	ds_load_b64 v[6:7], v1
.LBB67_29:
	s_or_b32 exec_lo, exec_lo, s0
	s_wait_dscnt 0x0
	v_mov_b64_e32 v[8:9], v[6:7]
.LBB67_30:
	v_cmp_gt_u32_e32 vcc_lo, 16, v0
	s_and_b32 exec_lo, exec_lo, vcc_lo
	s_cbranch_execz .LBB67_35
; %bb.31:
	s_wait_dscnt 0x0
	s_delay_alu instid0(VALU_DEP_2)
	v_mul_f64_e32 v[4:5], v[4:5], v[8:9]
	v_lshl_or_b32 v0, s8, 4, v0
	s_mov_b32 s0, exec_lo
	v_cmpx_eq_f64_e32 0, v[2:3]
	s_xor_b32 s0, exec_lo, s0
	s_cbranch_execz .LBB67_33
; %bb.32:
	global_store_b64 v0, v[4:5], s[2:3] scale_offset
                                        ; implicit-def: $vgpr0
                                        ; implicit-def: $vgpr2_vgpr3
                                        ; implicit-def: $vgpr4_vgpr5
.LBB67_33:
	s_wait_xcnt 0x0
	s_and_not1_saveexec_b32 s0, s0
	s_cbranch_execz .LBB67_35
; %bb.34:
	global_load_b64 v[6:7], v0, s[2:3] scale_offset
	s_wait_loadcnt 0x0
	v_fmac_f64_e32 v[4:5], v[2:3], v[6:7]
	global_store_b64 v0, v[4:5], s[2:3] scale_offset
.LBB67_35:
	s_endpgm
	.section	.rodata,"a",@progbits
	.p2align	6, 0x0
	.amdhsa_kernel _ZN9rocsparseL22gebsrmvn_mxn_16_kernelILj128ELj16ELj8EdEEvi20rocsparse_direction_NS_24const_host_device_scalarIT2_EEPKiS6_PKS3_iiS8_S4_PS3_21rocsparse_index_base_b
		.amdhsa_group_segment_fixed_size 1024
		.amdhsa_private_segment_fixed_size 0
		.amdhsa_kernarg_size 80
		.amdhsa_user_sgpr_count 2
		.amdhsa_user_sgpr_dispatch_ptr 0
		.amdhsa_user_sgpr_queue_ptr 0
		.amdhsa_user_sgpr_kernarg_segment_ptr 1
		.amdhsa_user_sgpr_dispatch_id 0
		.amdhsa_user_sgpr_kernarg_preload_length 0
		.amdhsa_user_sgpr_kernarg_preload_offset 0
		.amdhsa_user_sgpr_private_segment_size 0
		.amdhsa_wavefront_size32 1
		.amdhsa_uses_dynamic_stack 0
		.amdhsa_enable_private_segment 0
		.amdhsa_system_sgpr_workgroup_id_x 1
		.amdhsa_system_sgpr_workgroup_id_y 0
		.amdhsa_system_sgpr_workgroup_id_z 0
		.amdhsa_system_sgpr_workgroup_info 0
		.amdhsa_system_vgpr_workitem_id 0
		.amdhsa_next_free_vgpr 15
		.amdhsa_next_free_sgpr 16
		.amdhsa_named_barrier_count 0
		.amdhsa_reserve_vcc 1
		.amdhsa_float_round_mode_32 0
		.amdhsa_float_round_mode_16_64 0
		.amdhsa_float_denorm_mode_32 3
		.amdhsa_float_denorm_mode_16_64 3
		.amdhsa_fp16_overflow 0
		.amdhsa_memory_ordered 1
		.amdhsa_forward_progress 1
		.amdhsa_inst_pref_size 8
		.amdhsa_round_robin_scheduling 0
		.amdhsa_exception_fp_ieee_invalid_op 0
		.amdhsa_exception_fp_denorm_src 0
		.amdhsa_exception_fp_ieee_div_zero 0
		.amdhsa_exception_fp_ieee_overflow 0
		.amdhsa_exception_fp_ieee_underflow 0
		.amdhsa_exception_fp_ieee_inexact 0
		.amdhsa_exception_int_div_zero 0
	.end_amdhsa_kernel
	.section	.text._ZN9rocsparseL22gebsrmvn_mxn_16_kernelILj128ELj16ELj8EdEEvi20rocsparse_direction_NS_24const_host_device_scalarIT2_EEPKiS6_PKS3_iiS8_S4_PS3_21rocsparse_index_base_b,"axG",@progbits,_ZN9rocsparseL22gebsrmvn_mxn_16_kernelILj128ELj16ELj8EdEEvi20rocsparse_direction_NS_24const_host_device_scalarIT2_EEPKiS6_PKS3_iiS8_S4_PS3_21rocsparse_index_base_b,comdat
.Lfunc_end67:
	.size	_ZN9rocsparseL22gebsrmvn_mxn_16_kernelILj128ELj16ELj8EdEEvi20rocsparse_direction_NS_24const_host_device_scalarIT2_EEPKiS6_PKS3_iiS8_S4_PS3_21rocsparse_index_base_b, .Lfunc_end67-_ZN9rocsparseL22gebsrmvn_mxn_16_kernelILj128ELj16ELj8EdEEvi20rocsparse_direction_NS_24const_host_device_scalarIT2_EEPKiS6_PKS3_iiS8_S4_PS3_21rocsparse_index_base_b
                                        ; -- End function
	.set _ZN9rocsparseL22gebsrmvn_mxn_16_kernelILj128ELj16ELj8EdEEvi20rocsparse_direction_NS_24const_host_device_scalarIT2_EEPKiS6_PKS3_iiS8_S4_PS3_21rocsparse_index_base_b.num_vgpr, 15
	.set _ZN9rocsparseL22gebsrmvn_mxn_16_kernelILj128ELj16ELj8EdEEvi20rocsparse_direction_NS_24const_host_device_scalarIT2_EEPKiS6_PKS3_iiS8_S4_PS3_21rocsparse_index_base_b.num_agpr, 0
	.set _ZN9rocsparseL22gebsrmvn_mxn_16_kernelILj128ELj16ELj8EdEEvi20rocsparse_direction_NS_24const_host_device_scalarIT2_EEPKiS6_PKS3_iiS8_S4_PS3_21rocsparse_index_base_b.numbered_sgpr, 16
	.set _ZN9rocsparseL22gebsrmvn_mxn_16_kernelILj128ELj16ELj8EdEEvi20rocsparse_direction_NS_24const_host_device_scalarIT2_EEPKiS6_PKS3_iiS8_S4_PS3_21rocsparse_index_base_b.num_named_barrier, 0
	.set _ZN9rocsparseL22gebsrmvn_mxn_16_kernelILj128ELj16ELj8EdEEvi20rocsparse_direction_NS_24const_host_device_scalarIT2_EEPKiS6_PKS3_iiS8_S4_PS3_21rocsparse_index_base_b.private_seg_size, 0
	.set _ZN9rocsparseL22gebsrmvn_mxn_16_kernelILj128ELj16ELj8EdEEvi20rocsparse_direction_NS_24const_host_device_scalarIT2_EEPKiS6_PKS3_iiS8_S4_PS3_21rocsparse_index_base_b.uses_vcc, 1
	.set _ZN9rocsparseL22gebsrmvn_mxn_16_kernelILj128ELj16ELj8EdEEvi20rocsparse_direction_NS_24const_host_device_scalarIT2_EEPKiS6_PKS3_iiS8_S4_PS3_21rocsparse_index_base_b.uses_flat_scratch, 0
	.set _ZN9rocsparseL22gebsrmvn_mxn_16_kernelILj128ELj16ELj8EdEEvi20rocsparse_direction_NS_24const_host_device_scalarIT2_EEPKiS6_PKS3_iiS8_S4_PS3_21rocsparse_index_base_b.has_dyn_sized_stack, 0
	.set _ZN9rocsparseL22gebsrmvn_mxn_16_kernelILj128ELj16ELj8EdEEvi20rocsparse_direction_NS_24const_host_device_scalarIT2_EEPKiS6_PKS3_iiS8_S4_PS3_21rocsparse_index_base_b.has_recursion, 0
	.set _ZN9rocsparseL22gebsrmvn_mxn_16_kernelILj128ELj16ELj8EdEEvi20rocsparse_direction_NS_24const_host_device_scalarIT2_EEPKiS6_PKS3_iiS8_S4_PS3_21rocsparse_index_base_b.has_indirect_call, 0
	.section	.AMDGPU.csdata,"",@progbits
; Kernel info:
; codeLenInByte = 980
; TotalNumSgprs: 18
; NumVgprs: 15
; ScratchSize: 0
; MemoryBound: 0
; FloatMode: 240
; IeeeMode: 1
; LDSByteSize: 1024 bytes/workgroup (compile time only)
; SGPRBlocks: 0
; VGPRBlocks: 0
; NumSGPRsForWavesPerEU: 18
; NumVGPRsForWavesPerEU: 15
; NamedBarCnt: 0
; Occupancy: 16
; WaveLimiterHint : 1
; COMPUTE_PGM_RSRC2:SCRATCH_EN: 0
; COMPUTE_PGM_RSRC2:USER_SGPR: 2
; COMPUTE_PGM_RSRC2:TRAP_HANDLER: 0
; COMPUTE_PGM_RSRC2:TGID_X_EN: 1
; COMPUTE_PGM_RSRC2:TGID_Y_EN: 0
; COMPUTE_PGM_RSRC2:TGID_Z_EN: 0
; COMPUTE_PGM_RSRC2:TIDIG_COMP_CNT: 0
	.section	.text._ZN9rocsparseL22gebsrmvn_mxn_16_kernelILj52ELj13ELj1E21rocsparse_complex_numIfEEEvi20rocsparse_direction_NS_24const_host_device_scalarIT2_EEPKiS8_PKS5_iiSA_S6_PS5_21rocsparse_index_base_b,"axG",@progbits,_ZN9rocsparseL22gebsrmvn_mxn_16_kernelILj52ELj13ELj1E21rocsparse_complex_numIfEEEvi20rocsparse_direction_NS_24const_host_device_scalarIT2_EEPKiS8_PKS5_iiSA_S6_PS5_21rocsparse_index_base_b,comdat
	.globl	_ZN9rocsparseL22gebsrmvn_mxn_16_kernelILj52ELj13ELj1E21rocsparse_complex_numIfEEEvi20rocsparse_direction_NS_24const_host_device_scalarIT2_EEPKiS8_PKS5_iiSA_S6_PS5_21rocsparse_index_base_b ; -- Begin function _ZN9rocsparseL22gebsrmvn_mxn_16_kernelILj52ELj13ELj1E21rocsparse_complex_numIfEEEvi20rocsparse_direction_NS_24const_host_device_scalarIT2_EEPKiS8_PKS5_iiSA_S6_PS5_21rocsparse_index_base_b
	.p2align	8
	.type	_ZN9rocsparseL22gebsrmvn_mxn_16_kernelILj52ELj13ELj1E21rocsparse_complex_numIfEEEvi20rocsparse_direction_NS_24const_host_device_scalarIT2_EEPKiS8_PKS5_iiSA_S6_PS5_21rocsparse_index_base_b,@function
_ZN9rocsparseL22gebsrmvn_mxn_16_kernelILj52ELj13ELj1E21rocsparse_complex_numIfEEEvi20rocsparse_direction_NS_24const_host_device_scalarIT2_EEPKiS8_PKS5_iiSA_S6_PS5_21rocsparse_index_base_b: ; @_ZN9rocsparseL22gebsrmvn_mxn_16_kernelILj52ELj13ELj1E21rocsparse_complex_numIfEEEvi20rocsparse_direction_NS_24const_host_device_scalarIT2_EEPKiS8_PKS5_iiSA_S6_PS5_21rocsparse_index_base_b
; %bb.0:
	s_clause 0x2
	s_load_b64 s[10:11], s[0:1], 0x48
	s_load_b64 s[2:3], s[0:1], 0x8
	;; [unrolled: 1-line block ×3, first 2 shown]
	v_mov_b32_e32 v1, 0
	s_add_nc_u64 s[6:7], s[0:1], 8
	s_add_nc_u64 s[8:9], s[0:1], 56
	s_wait_kmcnt 0x0
	s_bitcmp1_b32 s11, 0
	s_cselect_b32 s3, s7, s3
	s_cselect_b32 s2, s6, s2
	;; [unrolled: 1-line block ×4, first 2 shown]
	s_clause 0x1
	flat_load_b64 v[2:3], v1, s[2:3]
	flat_load_b64 v[4:5], v1, s[4:5]
	s_wait_loadcnt_dscnt 0x101
	v_cmp_eq_f32_e32 vcc_lo, 0, v2
	v_cmp_eq_f32_e64 s2, 0, v3
	s_wait_loadcnt_dscnt 0x0
	v_cmp_eq_f32_e64 s3, 1.0, v4
	v_cmp_eq_f32_e64 s4, 0, v5
	s_and_b32 s2, vcc_lo, s2
	s_and_b32 s3, s3, s4
	s_mov_b32 s4, -1
	s_and_b32 s2, s2, s3
	s_delay_alu instid0(SALU_CYCLE_1) | instskip(NEXT) | instid1(SALU_CYCLE_1)
	s_xor_b32 s2, s2, -1
	s_and_saveexec_b32 s3, s2
	s_cbranch_execz .LBB68_17
; %bb.1:
	s_load_b64 s[2:3], s[0:1], 0x10
	s_bfe_u32 s5, ttmp6, 0x4000c
	s_and_b32 s6, ttmp6, 15
	s_add_co_i32 s5, s5, 1
	s_getreg_b32 s7, hwreg(HW_REG_IB_STS2, 6, 4)
	s_mul_i32 s5, ttmp9, s5
	s_delay_alu instid0(SALU_CYCLE_1) | instskip(SKIP_2) | instid1(SALU_CYCLE_1)
	s_add_co_i32 s6, s6, s5
	s_cmp_eq_u32 s7, 0
	s_cselect_b32 s8, ttmp9, s6
	s_ashr_i32 s9, s8, 31
	s_delay_alu instid0(SALU_CYCLE_1)
	s_lshl_b64 s[6:7], s[8:9], 2
	s_wait_kmcnt 0x0
	s_add_nc_u64 s[2:3], s[2:3], s[6:7]
	s_load_b64 s[14:15], s[2:3], 0x0
	s_wait_kmcnt 0x0
	s_cmp_lt_i32 s14, s15
	s_cbranch_scc1 .LBB68_3
; %bb.2:
	s_mov_b32 s4, 0
.LBB68_3:
	s_load_b64 s[2:3], s[0:1], 0x40
	v_mov_b32_e32 v7, 0
	s_and_not1_b32 vcc_lo, exec_lo, s4
	s_delay_alu instid0(VALU_DEP_1)
	v_mov_b32_e32 v6, v7
	s_cbranch_vccnz .LBB68_8
; %bb.4:
	s_clause 0x1
	s_load_b128 s[4:7], s[0:1], 0x18
	s_load_b64 s[12:13], s[0:1], 0x30
	v_mad_u32 v7, s14, 13, v0
	v_mul_u32_u24_e32 v1, 0x13b2, v0
	v_mov_b32_e32 v6, 0
	s_wait_xcnt 0x0
	s_mul_i32 s0, s10, 13
	s_sub_co_i32 s1, s14, s10
	v_lshrrev_b32_e32 v1, 16, v1
	s_delay_alu instid0(VALU_DEP_4)
	v_subrev_nc_u32_e32 v8, s0, v7
	v_mov_b32_e32 v7, v6
	s_sub_co_i32 s0, s15, s10
	s_branch .LBB68_6
.LBB68_5:                               ;   in Loop: Header=BB68_6 Depth=1
	s_or_b32 exec_lo, exec_lo, s9
	v_add_nc_u32_e32 v8, 52, v8
	s_add_co_i32 s1, s1, 4
	s_delay_alu instid0(SALU_CYCLE_1)
	s_cmp_ge_i32 s1, s0
	s_cbranch_scc1 .LBB68_8
.LBB68_6:                               ; =>This Inner Loop Header: Depth=1
	v_add_nc_u32_e32 v9, s1, v1
	s_mov_b32 s9, exec_lo
	s_delay_alu instid0(VALU_DEP_1)
	v_cmpx_gt_i32_e64 s0, v9
	s_cbranch_execz .LBB68_5
; %bb.7:                                ;   in Loop: Header=BB68_6 Depth=1
	s_wait_kmcnt 0x0
	global_load_b32 v9, v9, s[4:5] scale_offset
	s_wait_loadcnt 0x0
	v_subrev_nc_u32_e32 v9, s10, v9
	global_load_b64 v[10:11], v9, s[12:13] scale_offset
	global_load_b64 v[12:13], v8, s[6:7] scale_offset
	s_wait_loadcnt 0x0
	v_pk_fma_f32 v[6:7], v[12:13], v[10:11], v[6:7] op_sel_hi:[1,0,1]
	s_delay_alu instid0(VALU_DEP_1)
	v_pk_fma_f32 v[6:7], v[12:13], v[10:11], v[6:7] op_sel:[1,1,0] op_sel_hi:[0,1,1] neg_lo:[1,0,0]
	s_branch .LBB68_5
.LBB68_8:
	v_lshlrev_b32_e32 v1, 3, v0
	s_wait_xcnt 0x0
	s_mov_b32 s0, exec_lo
	ds_store_b64 v1, v[6:7]
	s_wait_dscnt 0x0
	s_barrier_signal -1
	s_barrier_wait -1
	v_cmpx_gt_u32_e32 26, v0
	s_cbranch_execz .LBB68_10
; %bb.9:
	ds_load_2addr_b64 v[6:9], v1 offset1:26
	s_wait_dscnt 0x0
	v_pk_add_f32 v[6:7], v[8:9], v[6:7]
	ds_store_b64 v1, v[6:7]
.LBB68_10:
	s_or_b32 exec_lo, exec_lo, s0
	v_cmp_gt_u32_e32 vcc_lo, 13, v0
	s_wait_dscnt 0x0
	s_barrier_signal -1
	s_barrier_wait -1
	s_and_saveexec_b32 s0, vcc_lo
	s_cbranch_execz .LBB68_12
; %bb.11:
	ds_load_2addr_b64 v[6:9], v1 offset1:13
	s_wait_dscnt 0x0
	v_pk_add_f32 v[6:7], v[8:9], v[6:7]
	ds_store_b64 v1, v[6:7]
.LBB68_12:
	s_or_b32 exec_lo, exec_lo, s0
	s_wait_dscnt 0x0
	s_barrier_signal -1
	s_barrier_wait -1
	s_and_b32 exec_lo, exec_lo, vcc_lo
	s_cbranch_execz .LBB68_17
; %bb.13:
	ds_load_b64 v[6:7], v1
	v_mad_u32 v8, s8, 13, v0
	v_cmp_eq_f32_e32 vcc_lo, 0, v4
	v_cmp_eq_f32_e64 s0, 0, v5
	v_xor_b32_e32 v0, 0x80000000, v3
	s_and_b32 s0, vcc_lo, s0
	s_delay_alu instid0(SALU_CYCLE_1) | instskip(NEXT) | instid1(SALU_CYCLE_1)
	s_and_saveexec_b32 s1, s0
	s_xor_b32 s0, exec_lo, s1
	s_cbranch_execz .LBB68_15
; %bb.14:
	s_wait_dscnt 0x0
	v_dual_mov_b32 v4, v7 :: v_dual_mov_b32 v1, v2
	s_delay_alu instid0(VALU_DEP_1) | instskip(NEXT) | instid1(VALU_DEP_1)
	v_pk_mul_f32 v[0:1], v[4:5], v[0:1] op_sel_hi:[0,1]
                                        ; implicit-def: $vgpr4_vgpr5
	v_pk_fma_f32 v[0:1], v[2:3], v[6:7], v[0:1] op_sel_hi:[1,0,1]
                                        ; implicit-def: $vgpr7
                                        ; implicit-def: $vgpr2_vgpr3
	s_wait_kmcnt 0x0
	global_store_b64 v8, v[0:1], s[2:3] scale_offset
                                        ; implicit-def: $vgpr8
                                        ; implicit-def: $vgpr0
.LBB68_15:
	s_wait_xcnt 0x0
	s_and_not1_saveexec_b32 s0, s0
	s_cbranch_execz .LBB68_17
; %bb.16:
	s_wait_kmcnt 0x0
	global_load_b64 v[10:11], v8, s[2:3] scale_offset
	s_wait_dscnt 0x0
	v_dual_mov_b32 v12, v7 :: v_dual_mov_b32 v1, v2
	s_delay_alu instid0(VALU_DEP_1) | instskip(NEXT) | instid1(VALU_DEP_1)
	v_pk_mul_f32 v[0:1], v[12:13], v[0:1] op_sel_hi:[0,1]
	v_pk_fma_f32 v[0:1], v[2:3], v[6:7], v[0:1] op_sel_hi:[1,0,1]
	v_xor_b32_e32 v2, 0x80000000, v5
	v_mov_b32_e32 v3, v4
	s_wait_loadcnt 0x0
	s_delay_alu instid0(VALU_DEP_3) | instskip(NEXT) | instid1(VALU_DEP_1)
	v_pk_fma_f32 v[0:1], v[4:5], v[10:11], v[0:1] op_sel_hi:[1,0,1]
	v_pk_fma_f32 v[0:1], v[2:3], v[10:11], v[0:1] op_sel:[0,1,0]
	global_store_b64 v8, v[0:1], s[2:3] scale_offset
.LBB68_17:
	s_endpgm
	.section	.rodata,"a",@progbits
	.p2align	6, 0x0
	.amdhsa_kernel _ZN9rocsparseL22gebsrmvn_mxn_16_kernelILj52ELj13ELj1E21rocsparse_complex_numIfEEEvi20rocsparse_direction_NS_24const_host_device_scalarIT2_EEPKiS8_PKS5_iiSA_S6_PS5_21rocsparse_index_base_b
		.amdhsa_group_segment_fixed_size 416
		.amdhsa_private_segment_fixed_size 0
		.amdhsa_kernarg_size 80
		.amdhsa_user_sgpr_count 2
		.amdhsa_user_sgpr_dispatch_ptr 0
		.amdhsa_user_sgpr_queue_ptr 0
		.amdhsa_user_sgpr_kernarg_segment_ptr 1
		.amdhsa_user_sgpr_dispatch_id 0
		.amdhsa_user_sgpr_kernarg_preload_length 0
		.amdhsa_user_sgpr_kernarg_preload_offset 0
		.amdhsa_user_sgpr_private_segment_size 0
		.amdhsa_wavefront_size32 1
		.amdhsa_uses_dynamic_stack 0
		.amdhsa_enable_private_segment 0
		.amdhsa_system_sgpr_workgroup_id_x 1
		.amdhsa_system_sgpr_workgroup_id_y 0
		.amdhsa_system_sgpr_workgroup_id_z 0
		.amdhsa_system_sgpr_workgroup_info 0
		.amdhsa_system_vgpr_workitem_id 0
		.amdhsa_next_free_vgpr 14
		.amdhsa_next_free_sgpr 16
		.amdhsa_named_barrier_count 0
		.amdhsa_reserve_vcc 1
		.amdhsa_float_round_mode_32 0
		.amdhsa_float_round_mode_16_64 0
		.amdhsa_float_denorm_mode_32 3
		.amdhsa_float_denorm_mode_16_64 3
		.amdhsa_fp16_overflow 0
		.amdhsa_memory_ordered 1
		.amdhsa_forward_progress 1
		.amdhsa_inst_pref_size 7
		.amdhsa_round_robin_scheduling 0
		.amdhsa_exception_fp_ieee_invalid_op 0
		.amdhsa_exception_fp_denorm_src 0
		.amdhsa_exception_fp_ieee_div_zero 0
		.amdhsa_exception_fp_ieee_overflow 0
		.amdhsa_exception_fp_ieee_underflow 0
		.amdhsa_exception_fp_ieee_inexact 0
		.amdhsa_exception_int_div_zero 0
	.end_amdhsa_kernel
	.section	.text._ZN9rocsparseL22gebsrmvn_mxn_16_kernelILj52ELj13ELj1E21rocsparse_complex_numIfEEEvi20rocsparse_direction_NS_24const_host_device_scalarIT2_EEPKiS8_PKS5_iiSA_S6_PS5_21rocsparse_index_base_b,"axG",@progbits,_ZN9rocsparseL22gebsrmvn_mxn_16_kernelILj52ELj13ELj1E21rocsparse_complex_numIfEEEvi20rocsparse_direction_NS_24const_host_device_scalarIT2_EEPKiS8_PKS5_iiSA_S6_PS5_21rocsparse_index_base_b,comdat
.Lfunc_end68:
	.size	_ZN9rocsparseL22gebsrmvn_mxn_16_kernelILj52ELj13ELj1E21rocsparse_complex_numIfEEEvi20rocsparse_direction_NS_24const_host_device_scalarIT2_EEPKiS8_PKS5_iiSA_S6_PS5_21rocsparse_index_base_b, .Lfunc_end68-_ZN9rocsparseL22gebsrmvn_mxn_16_kernelILj52ELj13ELj1E21rocsparse_complex_numIfEEEvi20rocsparse_direction_NS_24const_host_device_scalarIT2_EEPKiS8_PKS5_iiSA_S6_PS5_21rocsparse_index_base_b
                                        ; -- End function
	.set _ZN9rocsparseL22gebsrmvn_mxn_16_kernelILj52ELj13ELj1E21rocsparse_complex_numIfEEEvi20rocsparse_direction_NS_24const_host_device_scalarIT2_EEPKiS8_PKS5_iiSA_S6_PS5_21rocsparse_index_base_b.num_vgpr, 14
	.set _ZN9rocsparseL22gebsrmvn_mxn_16_kernelILj52ELj13ELj1E21rocsparse_complex_numIfEEEvi20rocsparse_direction_NS_24const_host_device_scalarIT2_EEPKiS8_PKS5_iiSA_S6_PS5_21rocsparse_index_base_b.num_agpr, 0
	.set _ZN9rocsparseL22gebsrmvn_mxn_16_kernelILj52ELj13ELj1E21rocsparse_complex_numIfEEEvi20rocsparse_direction_NS_24const_host_device_scalarIT2_EEPKiS8_PKS5_iiSA_S6_PS5_21rocsparse_index_base_b.numbered_sgpr, 16
	.set _ZN9rocsparseL22gebsrmvn_mxn_16_kernelILj52ELj13ELj1E21rocsparse_complex_numIfEEEvi20rocsparse_direction_NS_24const_host_device_scalarIT2_EEPKiS8_PKS5_iiSA_S6_PS5_21rocsparse_index_base_b.num_named_barrier, 0
	.set _ZN9rocsparseL22gebsrmvn_mxn_16_kernelILj52ELj13ELj1E21rocsparse_complex_numIfEEEvi20rocsparse_direction_NS_24const_host_device_scalarIT2_EEPKiS8_PKS5_iiSA_S6_PS5_21rocsparse_index_base_b.private_seg_size, 0
	.set _ZN9rocsparseL22gebsrmvn_mxn_16_kernelILj52ELj13ELj1E21rocsparse_complex_numIfEEEvi20rocsparse_direction_NS_24const_host_device_scalarIT2_EEPKiS8_PKS5_iiSA_S6_PS5_21rocsparse_index_base_b.uses_vcc, 1
	.set _ZN9rocsparseL22gebsrmvn_mxn_16_kernelILj52ELj13ELj1E21rocsparse_complex_numIfEEEvi20rocsparse_direction_NS_24const_host_device_scalarIT2_EEPKiS8_PKS5_iiSA_S6_PS5_21rocsparse_index_base_b.uses_flat_scratch, 1
	.set _ZN9rocsparseL22gebsrmvn_mxn_16_kernelILj52ELj13ELj1E21rocsparse_complex_numIfEEEvi20rocsparse_direction_NS_24const_host_device_scalarIT2_EEPKiS8_PKS5_iiSA_S6_PS5_21rocsparse_index_base_b.has_dyn_sized_stack, 0
	.set _ZN9rocsparseL22gebsrmvn_mxn_16_kernelILj52ELj13ELj1E21rocsparse_complex_numIfEEEvi20rocsparse_direction_NS_24const_host_device_scalarIT2_EEPKiS8_PKS5_iiSA_S6_PS5_21rocsparse_index_base_b.has_recursion, 0
	.set _ZN9rocsparseL22gebsrmvn_mxn_16_kernelILj52ELj13ELj1E21rocsparse_complex_numIfEEEvi20rocsparse_direction_NS_24const_host_device_scalarIT2_EEPKiS8_PKS5_iiSA_S6_PS5_21rocsparse_index_base_b.has_indirect_call, 0
	.section	.AMDGPU.csdata,"",@progbits
; Kernel info:
; codeLenInByte = 844
; TotalNumSgprs: 18
; NumVgprs: 14
; ScratchSize: 0
; MemoryBound: 0
; FloatMode: 240
; IeeeMode: 1
; LDSByteSize: 416 bytes/workgroup (compile time only)
; SGPRBlocks: 0
; VGPRBlocks: 0
; NumSGPRsForWavesPerEU: 18
; NumVGPRsForWavesPerEU: 14
; NamedBarCnt: 0
; Occupancy: 16
; WaveLimiterHint : 1
; COMPUTE_PGM_RSRC2:SCRATCH_EN: 0
; COMPUTE_PGM_RSRC2:USER_SGPR: 2
; COMPUTE_PGM_RSRC2:TRAP_HANDLER: 0
; COMPUTE_PGM_RSRC2:TGID_X_EN: 1
; COMPUTE_PGM_RSRC2:TGID_Y_EN: 0
; COMPUTE_PGM_RSRC2:TGID_Z_EN: 0
; COMPUTE_PGM_RSRC2:TIDIG_COMP_CNT: 0
	.section	.text._ZN9rocsparseL22gebsrmvn_mxn_16_kernelILj52ELj13ELj2E21rocsparse_complex_numIfEEEvi20rocsparse_direction_NS_24const_host_device_scalarIT2_EEPKiS8_PKS5_iiSA_S6_PS5_21rocsparse_index_base_b,"axG",@progbits,_ZN9rocsparseL22gebsrmvn_mxn_16_kernelILj52ELj13ELj2E21rocsparse_complex_numIfEEEvi20rocsparse_direction_NS_24const_host_device_scalarIT2_EEPKiS8_PKS5_iiSA_S6_PS5_21rocsparse_index_base_b,comdat
	.globl	_ZN9rocsparseL22gebsrmvn_mxn_16_kernelILj52ELj13ELj2E21rocsparse_complex_numIfEEEvi20rocsparse_direction_NS_24const_host_device_scalarIT2_EEPKiS8_PKS5_iiSA_S6_PS5_21rocsparse_index_base_b ; -- Begin function _ZN9rocsparseL22gebsrmvn_mxn_16_kernelILj52ELj13ELj2E21rocsparse_complex_numIfEEEvi20rocsparse_direction_NS_24const_host_device_scalarIT2_EEPKiS8_PKS5_iiSA_S6_PS5_21rocsparse_index_base_b
	.p2align	8
	.type	_ZN9rocsparseL22gebsrmvn_mxn_16_kernelILj52ELj13ELj2E21rocsparse_complex_numIfEEEvi20rocsparse_direction_NS_24const_host_device_scalarIT2_EEPKiS8_PKS5_iiSA_S6_PS5_21rocsparse_index_base_b,@function
_ZN9rocsparseL22gebsrmvn_mxn_16_kernelILj52ELj13ELj2E21rocsparse_complex_numIfEEEvi20rocsparse_direction_NS_24const_host_device_scalarIT2_EEPKiS8_PKS5_iiSA_S6_PS5_21rocsparse_index_base_b: ; @_ZN9rocsparseL22gebsrmvn_mxn_16_kernelILj52ELj13ELj2E21rocsparse_complex_numIfEEEvi20rocsparse_direction_NS_24const_host_device_scalarIT2_EEPKiS8_PKS5_iiSA_S6_PS5_21rocsparse_index_base_b
; %bb.0:
	s_clause 0x2
	s_load_b64 s[10:11], s[0:1], 0x48
	s_load_b64 s[2:3], s[0:1], 0x8
	;; [unrolled: 1-line block ×3, first 2 shown]
	v_mov_b32_e32 v1, 0
	s_add_nc_u64 s[6:7], s[0:1], 8
	s_add_nc_u64 s[8:9], s[0:1], 56
	s_wait_kmcnt 0x0
	s_bitcmp1_b32 s11, 0
	s_cselect_b32 s3, s7, s3
	s_cselect_b32 s2, s6, s2
	s_cselect_b32 s5, s9, s5
	s_cselect_b32 s4, s8, s4
	s_clause 0x1
	flat_load_b64 v[2:3], v1, s[2:3]
	flat_load_b64 v[4:5], v1, s[4:5]
	s_wait_loadcnt_dscnt 0x101
	v_cmp_eq_f32_e32 vcc_lo, 0, v2
	v_cmp_eq_f32_e64 s2, 0, v3
	s_wait_loadcnt_dscnt 0x0
	v_cmp_eq_f32_e64 s3, 1.0, v4
	v_cmp_eq_f32_e64 s4, 0, v5
	s_and_b32 s2, vcc_lo, s2
	s_and_b32 s3, s3, s4
	s_delay_alu instid0(SALU_CYCLE_1) | instskip(NEXT) | instid1(SALU_CYCLE_1)
	s_and_b32 s2, s2, s3
	s_xor_b32 s2, s2, -1
	s_delay_alu instid0(SALU_CYCLE_1)
	s_and_saveexec_b32 s3, s2
	s_cbranch_execz .LBB69_28
; %bb.1:
	s_clause 0x1
	s_load_b32 s4, s[0:1], 0x4
	s_load_b64 s[2:3], s[0:1], 0x10
	v_and_b32_e32 v1, 1, v0
	s_delay_alu instid0(VALU_DEP_1) | instskip(SKIP_3) | instid1(SALU_CYCLE_1)
	v_mov_b32_e32 v8, v1
	s_wait_kmcnt 0x0
	s_cmp_lg_u32 s4, 1
	s_cselect_b32 s11, -1, 0
	s_and_b32 vcc_lo, exec_lo, s11
	s_cbranch_vccnz .LBB69_3
; %bb.2:
	v_mul_u32_u24_e32 v6, 0x13b2, v0
	s_delay_alu instid0(VALU_DEP_1)
	v_bfe_u32 v8, v6, 16, 1
.LBB69_3:
	s_bfe_u32 s4, ttmp6, 0x4000c
	s_and_b32 s5, ttmp6, 15
	s_add_co_i32 s4, s4, 1
	s_getreg_b32 s6, hwreg(HW_REG_IB_STS2, 6, 4)
	s_mul_i32 s4, ttmp9, s4
	s_delay_alu instid0(SALU_CYCLE_1) | instskip(SKIP_2) | instid1(SALU_CYCLE_1)
	s_add_co_i32 s5, s5, s4
	s_cmp_eq_u32 s6, 0
	s_cselect_b32 s8, ttmp9, s5
	s_ashr_i32 s9, s8, 31
	s_delay_alu instid0(SALU_CYCLE_1) | instskip(NEXT) | instid1(SALU_CYCLE_1)
	s_lshl_b64 s[4:5], s[8:9], 2
	s_add_nc_u64 s[4:5], s[2:3], s[4:5]
	s_load_b64 s[14:15], s[4:5], 0x0
	s_load_b64 s[2:3], s[0:1], 0x40
	s_wait_kmcnt 0x0
	s_cmp_ge_i32 s14, s15
	s_cbranch_scc1 .LBB69_8
; %bb.4:
	s_clause 0x1
	s_load_b128 s[4:7], s[0:1], 0x18
	s_load_b64 s[12:13], s[0:1], 0x30
	v_mad_u32 v10, s14, 26, v0
	v_mul_u32_u24_e32 v9, 0x9d9, v0
	s_wait_xcnt 0x0
	s_mul_i32 s0, s10, 26
	v_mov_b64_e32 v[6:7], 0
	s_sub_co_i32 s1, s14, s10
	v_lshrrev_b32_e32 v9, 16, v9
	s_delay_alu instid0(VALU_DEP_4)
	v_subrev_nc_u32_e32 v10, s0, v10
	s_sub_co_i32 s0, s15, s10
	s_branch .LBB69_6
.LBB69_5:                               ;   in Loop: Header=BB69_6 Depth=1
	s_or_b32 exec_lo, exec_lo, s9
	v_add_nc_u32_e32 v10, 52, v10
	s_add_co_i32 s1, s1, 2
	s_delay_alu instid0(SALU_CYCLE_1)
	s_cmp_ge_i32 s1, s0
	s_cbranch_scc1 .LBB69_9
.LBB69_6:                               ; =>This Inner Loop Header: Depth=1
	s_delay_alu instid0(VALU_DEP_2) | instskip(SKIP_1) | instid1(VALU_DEP_1)
	v_add_nc_u32_e32 v11, s1, v9
	s_mov_b32 s9, exec_lo
	v_cmpx_gt_i32_e64 s0, v11
	s_cbranch_execz .LBB69_5
; %bb.7:                                ;   in Loop: Header=BB69_6 Depth=1
	s_wait_kmcnt 0x0
	global_load_b32 v11, v11, s[4:5] scale_offset
	s_wait_loadcnt 0x0
	v_subrev_nc_u32_e32 v11, s10, v11
	s_delay_alu instid0(VALU_DEP_1) | instskip(SKIP_4) | instid1(VALU_DEP_1)
	v_lshl_or_b32 v11, v11, 1, v8
	global_load_b64 v[12:13], v11, s[12:13] scale_offset
	global_load_b64 v[14:15], v10, s[6:7] scale_offset
	s_wait_loadcnt 0x0
	v_pk_fma_f32 v[6:7], v[14:15], v[12:13], v[6:7] op_sel_hi:[1,0,1]
	v_pk_fma_f32 v[6:7], v[14:15], v[12:13], v[6:7] op_sel:[1,1,0] op_sel_hi:[0,1,1] neg_lo:[1,0,0]
	s_branch .LBB69_5
.LBB69_8:
	v_mov_b64_e32 v[6:7], 0
.LBB69_9:
	v_lshlrev_b32_e32 v10, 3, v0
	s_mov_b32 s0, exec_lo
	ds_store_b64 v10, v[6:7]
	s_wait_dscnt 0x0
	s_barrier_signal -1
	s_barrier_wait -1
	v_cmpx_gt_u32_e32 26, v0
	s_cbranch_execz .LBB69_11
; %bb.10:
	ds_load_2addr_b64 v[12:15], v10 offset1:26
	s_wait_dscnt 0x0
	v_pk_add_f32 v[8:9], v[14:15], v[12:13]
	ds_store_b64 v10, v[8:9]
.LBB69_11:
	s_or_b32 exec_lo, exec_lo, s0
	s_delay_alu instid0(SALU_CYCLE_1)
	s_and_b32 vcc_lo, exec_lo, s11
	s_wait_dscnt 0x0
	s_barrier_signal -1
	s_barrier_wait -1
	s_cbranch_vccz .LBB69_17
; %bb.12:
	s_mov_b32 s0, exec_lo
	v_cmpx_eq_u32_e32 0, v1
	s_cbranch_execz .LBB69_14
; %bb.13:
	ds_load_2addr_b64 v[12:15], v10 offset1:1
	s_wait_dscnt 0x0
	v_pk_add_f32 v[8:9], v[14:15], v[12:13]
	ds_store_b64 v10, v[8:9]
.LBB69_14:
	s_or_b32 exec_lo, exec_lo, s0
	v_mov_b64_e32 v[8:9], v[6:7]
	s_mov_b32 s0, exec_lo
	s_wait_dscnt 0x0
	s_barrier_signal -1
	s_barrier_wait -1
	v_cmpx_gt_u32_e32 13, v0
; %bb.15:
	v_lshl_add_u32 v1, v0, 3, v10
	ds_load_b64 v[8:9], v1
; %bb.16:
	s_or_b32 exec_lo, exec_lo, s0
	s_branch .LBB69_23
.LBB69_17:
                                        ; implicit-def: $vgpr8_vgpr9
	s_cbranch_execz .LBB69_23
; %bb.18:
	s_mov_b32 s0, exec_lo
	v_cmpx_lt_u32_e32 12, v0
	s_xor_b32 s0, exec_lo, s0
	s_cbranch_execz .LBB69_20
; %bb.19:
	s_wait_dscnt 0x0
                                        ; implicit-def: $vgpr10
.LBB69_20:
	s_and_not1_saveexec_b32 s0, s0
	s_cbranch_execz .LBB69_22
; %bb.21:
	s_wait_dscnt 0x0
	ds_load_2addr_b64 v[6:9], v10 offset1:13
	s_wait_dscnt 0x0
	v_pk_add_f32 v[6:7], v[8:9], v[6:7]
	ds_store_b64 v10, v[6:7]
	s_wait_dscnt 0x0
	ds_load_b64 v[6:7], v10
.LBB69_22:
	s_or_b32 exec_lo, exec_lo, s0
	s_wait_dscnt 0x0
	v_mov_b64_e32 v[8:9], v[6:7]
.LBB69_23:
	v_cmp_gt_u32_e32 vcc_lo, 13, v0
	s_and_b32 exec_lo, exec_lo, vcc_lo
	s_cbranch_execz .LBB69_28
; %bb.24:
	v_mad_u32 v6, s8, 13, v0
	v_cmp_eq_f32_e32 vcc_lo, 0, v4
	v_cmp_eq_f32_e64 s0, 0, v5
	v_xor_b32_e32 v0, 0x80000000, v3
	s_and_b32 s0, vcc_lo, s0
	s_delay_alu instid0(SALU_CYCLE_1) | instskip(NEXT) | instid1(SALU_CYCLE_1)
	s_and_saveexec_b32 s1, s0
	s_xor_b32 s0, exec_lo, s1
	s_cbranch_execz .LBB69_26
; %bb.25:
	v_mov_b32_e32 v1, v2
                                        ; implicit-def: $vgpr4_vgpr5
	s_wait_dscnt 0x0
	s_delay_alu instid0(VALU_DEP_1) | instskip(NEXT) | instid1(VALU_DEP_1)
	v_pk_mul_f32 v[0:1], v[8:9], v[0:1] op_sel:[1,0]
	v_pk_fma_f32 v[0:1], v[2:3], v[8:9], v[0:1] op_sel_hi:[1,0,1]
                                        ; implicit-def: $vgpr2_vgpr3
                                        ; implicit-def: $vgpr8_vgpr9
	global_store_b64 v6, v[0:1], s[2:3] scale_offset
                                        ; implicit-def: $vgpr6
                                        ; implicit-def: $vgpr0
.LBB69_26:
	s_wait_xcnt 0x0
	s_and_not1_saveexec_b32 s0, s0
	s_cbranch_execz .LBB69_28
; %bb.27:
	global_load_b64 v[10:11], v6, s[2:3] scale_offset
	v_mov_b32_e32 v1, v2
	s_wait_dscnt 0x0
	s_delay_alu instid0(VALU_DEP_1) | instskip(NEXT) | instid1(VALU_DEP_1)
	v_pk_mul_f32 v[0:1], v[8:9], v[0:1] op_sel:[1,0]
	v_pk_fma_f32 v[0:1], v[2:3], v[8:9], v[0:1] op_sel_hi:[1,0,1]
	v_xor_b32_e32 v2, 0x80000000, v5
	v_mov_b32_e32 v3, v4
	s_wait_loadcnt 0x0
	s_delay_alu instid0(VALU_DEP_3) | instskip(NEXT) | instid1(VALU_DEP_1)
	v_pk_fma_f32 v[0:1], v[4:5], v[10:11], v[0:1] op_sel_hi:[1,0,1]
	v_pk_fma_f32 v[0:1], v[2:3], v[10:11], v[0:1] op_sel:[0,1,0]
	global_store_b64 v6, v[0:1], s[2:3] scale_offset
.LBB69_28:
	s_endpgm
	.section	.rodata,"a",@progbits
	.p2align	6, 0x0
	.amdhsa_kernel _ZN9rocsparseL22gebsrmvn_mxn_16_kernelILj52ELj13ELj2E21rocsparse_complex_numIfEEEvi20rocsparse_direction_NS_24const_host_device_scalarIT2_EEPKiS8_PKS5_iiSA_S6_PS5_21rocsparse_index_base_b
		.amdhsa_group_segment_fixed_size 416
		.amdhsa_private_segment_fixed_size 0
		.amdhsa_kernarg_size 80
		.amdhsa_user_sgpr_count 2
		.amdhsa_user_sgpr_dispatch_ptr 0
		.amdhsa_user_sgpr_queue_ptr 0
		.amdhsa_user_sgpr_kernarg_segment_ptr 1
		.amdhsa_user_sgpr_dispatch_id 0
		.amdhsa_user_sgpr_kernarg_preload_length 0
		.amdhsa_user_sgpr_kernarg_preload_offset 0
		.amdhsa_user_sgpr_private_segment_size 0
		.amdhsa_wavefront_size32 1
		.amdhsa_uses_dynamic_stack 0
		.amdhsa_enable_private_segment 0
		.amdhsa_system_sgpr_workgroup_id_x 1
		.amdhsa_system_sgpr_workgroup_id_y 0
		.amdhsa_system_sgpr_workgroup_id_z 0
		.amdhsa_system_sgpr_workgroup_info 0
		.amdhsa_system_vgpr_workitem_id 0
		.amdhsa_next_free_vgpr 16
		.amdhsa_next_free_sgpr 16
		.amdhsa_named_barrier_count 0
		.amdhsa_reserve_vcc 1
		.amdhsa_float_round_mode_32 0
		.amdhsa_float_round_mode_16_64 0
		.amdhsa_float_denorm_mode_32 3
		.amdhsa_float_denorm_mode_16_64 3
		.amdhsa_fp16_overflow 0
		.amdhsa_memory_ordered 1
		.amdhsa_forward_progress 1
		.amdhsa_inst_pref_size 8
		.amdhsa_round_robin_scheduling 0
		.amdhsa_exception_fp_ieee_invalid_op 0
		.amdhsa_exception_fp_denorm_src 0
		.amdhsa_exception_fp_ieee_div_zero 0
		.amdhsa_exception_fp_ieee_overflow 0
		.amdhsa_exception_fp_ieee_underflow 0
		.amdhsa_exception_fp_ieee_inexact 0
		.amdhsa_exception_int_div_zero 0
	.end_amdhsa_kernel
	.section	.text._ZN9rocsparseL22gebsrmvn_mxn_16_kernelILj52ELj13ELj2E21rocsparse_complex_numIfEEEvi20rocsparse_direction_NS_24const_host_device_scalarIT2_EEPKiS8_PKS5_iiSA_S6_PS5_21rocsparse_index_base_b,"axG",@progbits,_ZN9rocsparseL22gebsrmvn_mxn_16_kernelILj52ELj13ELj2E21rocsparse_complex_numIfEEEvi20rocsparse_direction_NS_24const_host_device_scalarIT2_EEPKiS8_PKS5_iiSA_S6_PS5_21rocsparse_index_base_b,comdat
.Lfunc_end69:
	.size	_ZN9rocsparseL22gebsrmvn_mxn_16_kernelILj52ELj13ELj2E21rocsparse_complex_numIfEEEvi20rocsparse_direction_NS_24const_host_device_scalarIT2_EEPKiS8_PKS5_iiSA_S6_PS5_21rocsparse_index_base_b, .Lfunc_end69-_ZN9rocsparseL22gebsrmvn_mxn_16_kernelILj52ELj13ELj2E21rocsparse_complex_numIfEEEvi20rocsparse_direction_NS_24const_host_device_scalarIT2_EEPKiS8_PKS5_iiSA_S6_PS5_21rocsparse_index_base_b
                                        ; -- End function
	.set _ZN9rocsparseL22gebsrmvn_mxn_16_kernelILj52ELj13ELj2E21rocsparse_complex_numIfEEEvi20rocsparse_direction_NS_24const_host_device_scalarIT2_EEPKiS8_PKS5_iiSA_S6_PS5_21rocsparse_index_base_b.num_vgpr, 16
	.set _ZN9rocsparseL22gebsrmvn_mxn_16_kernelILj52ELj13ELj2E21rocsparse_complex_numIfEEEvi20rocsparse_direction_NS_24const_host_device_scalarIT2_EEPKiS8_PKS5_iiSA_S6_PS5_21rocsparse_index_base_b.num_agpr, 0
	.set _ZN9rocsparseL22gebsrmvn_mxn_16_kernelILj52ELj13ELj2E21rocsparse_complex_numIfEEEvi20rocsparse_direction_NS_24const_host_device_scalarIT2_EEPKiS8_PKS5_iiSA_S6_PS5_21rocsparse_index_base_b.numbered_sgpr, 16
	.set _ZN9rocsparseL22gebsrmvn_mxn_16_kernelILj52ELj13ELj2E21rocsparse_complex_numIfEEEvi20rocsparse_direction_NS_24const_host_device_scalarIT2_EEPKiS8_PKS5_iiSA_S6_PS5_21rocsparse_index_base_b.num_named_barrier, 0
	.set _ZN9rocsparseL22gebsrmvn_mxn_16_kernelILj52ELj13ELj2E21rocsparse_complex_numIfEEEvi20rocsparse_direction_NS_24const_host_device_scalarIT2_EEPKiS8_PKS5_iiSA_S6_PS5_21rocsparse_index_base_b.private_seg_size, 0
	.set _ZN9rocsparseL22gebsrmvn_mxn_16_kernelILj52ELj13ELj2E21rocsparse_complex_numIfEEEvi20rocsparse_direction_NS_24const_host_device_scalarIT2_EEPKiS8_PKS5_iiSA_S6_PS5_21rocsparse_index_base_b.uses_vcc, 1
	.set _ZN9rocsparseL22gebsrmvn_mxn_16_kernelILj52ELj13ELj2E21rocsparse_complex_numIfEEEvi20rocsparse_direction_NS_24const_host_device_scalarIT2_EEPKiS8_PKS5_iiSA_S6_PS5_21rocsparse_index_base_b.uses_flat_scratch, 1
	.set _ZN9rocsparseL22gebsrmvn_mxn_16_kernelILj52ELj13ELj2E21rocsparse_complex_numIfEEEvi20rocsparse_direction_NS_24const_host_device_scalarIT2_EEPKiS8_PKS5_iiSA_S6_PS5_21rocsparse_index_base_b.has_dyn_sized_stack, 0
	.set _ZN9rocsparseL22gebsrmvn_mxn_16_kernelILj52ELj13ELj2E21rocsparse_complex_numIfEEEvi20rocsparse_direction_NS_24const_host_device_scalarIT2_EEPKiS8_PKS5_iiSA_S6_PS5_21rocsparse_index_base_b.has_recursion, 0
	.set _ZN9rocsparseL22gebsrmvn_mxn_16_kernelILj52ELj13ELj2E21rocsparse_complex_numIfEEEvi20rocsparse_direction_NS_24const_host_device_scalarIT2_EEPKiS8_PKS5_iiSA_S6_PS5_21rocsparse_index_base_b.has_indirect_call, 0
	.section	.AMDGPU.csdata,"",@progbits
; Kernel info:
; codeLenInByte = 1000
; TotalNumSgprs: 18
; NumVgprs: 16
; ScratchSize: 0
; MemoryBound: 0
; FloatMode: 240
; IeeeMode: 1
; LDSByteSize: 416 bytes/workgroup (compile time only)
; SGPRBlocks: 0
; VGPRBlocks: 0
; NumSGPRsForWavesPerEU: 18
; NumVGPRsForWavesPerEU: 16
; NamedBarCnt: 0
; Occupancy: 16
; WaveLimiterHint : 1
; COMPUTE_PGM_RSRC2:SCRATCH_EN: 0
; COMPUTE_PGM_RSRC2:USER_SGPR: 2
; COMPUTE_PGM_RSRC2:TRAP_HANDLER: 0
; COMPUTE_PGM_RSRC2:TGID_X_EN: 1
; COMPUTE_PGM_RSRC2:TGID_Y_EN: 0
; COMPUTE_PGM_RSRC2:TGID_Z_EN: 0
; COMPUTE_PGM_RSRC2:TIDIG_COMP_CNT: 0
	.section	.text._ZN9rocsparseL22gebsrmvn_mxn_16_kernelILj39ELj13ELj3E21rocsparse_complex_numIfEEEvi20rocsparse_direction_NS_24const_host_device_scalarIT2_EEPKiS8_PKS5_iiSA_S6_PS5_21rocsparse_index_base_b,"axG",@progbits,_ZN9rocsparseL22gebsrmvn_mxn_16_kernelILj39ELj13ELj3E21rocsparse_complex_numIfEEEvi20rocsparse_direction_NS_24const_host_device_scalarIT2_EEPKiS8_PKS5_iiSA_S6_PS5_21rocsparse_index_base_b,comdat
	.globl	_ZN9rocsparseL22gebsrmvn_mxn_16_kernelILj39ELj13ELj3E21rocsparse_complex_numIfEEEvi20rocsparse_direction_NS_24const_host_device_scalarIT2_EEPKiS8_PKS5_iiSA_S6_PS5_21rocsparse_index_base_b ; -- Begin function _ZN9rocsparseL22gebsrmvn_mxn_16_kernelILj39ELj13ELj3E21rocsparse_complex_numIfEEEvi20rocsparse_direction_NS_24const_host_device_scalarIT2_EEPKiS8_PKS5_iiSA_S6_PS5_21rocsparse_index_base_b
	.p2align	8
	.type	_ZN9rocsparseL22gebsrmvn_mxn_16_kernelILj39ELj13ELj3E21rocsparse_complex_numIfEEEvi20rocsparse_direction_NS_24const_host_device_scalarIT2_EEPKiS8_PKS5_iiSA_S6_PS5_21rocsparse_index_base_b,@function
_ZN9rocsparseL22gebsrmvn_mxn_16_kernelILj39ELj13ELj3E21rocsparse_complex_numIfEEEvi20rocsparse_direction_NS_24const_host_device_scalarIT2_EEPKiS8_PKS5_iiSA_S6_PS5_21rocsparse_index_base_b: ; @_ZN9rocsparseL22gebsrmvn_mxn_16_kernelILj39ELj13ELj3E21rocsparse_complex_numIfEEEvi20rocsparse_direction_NS_24const_host_device_scalarIT2_EEPKiS8_PKS5_iiSA_S6_PS5_21rocsparse_index_base_b
; %bb.0:
	s_clause 0x2
	s_load_b64 s[10:11], s[0:1], 0x48
	s_load_b64 s[2:3], s[0:1], 0x8
	;; [unrolled: 1-line block ×3, first 2 shown]
	v_mov_b32_e32 v1, 0
	s_add_nc_u64 s[6:7], s[0:1], 8
	s_add_nc_u64 s[8:9], s[0:1], 56
	s_wait_kmcnt 0x0
	s_bitcmp1_b32 s11, 0
	s_cselect_b32 s3, s7, s3
	s_cselect_b32 s2, s6, s2
	s_cselect_b32 s5, s9, s5
	s_cselect_b32 s4, s8, s4
	s_clause 0x1
	flat_load_b64 v[2:3], v1, s[2:3]
	flat_load_b64 v[4:5], v1, s[4:5]
	s_wait_loadcnt_dscnt 0x101
	v_cmp_eq_f32_e32 vcc_lo, 0, v2
	v_cmp_eq_f32_e64 s2, 0, v3
	s_wait_loadcnt_dscnt 0x0
	v_cmp_eq_f32_e64 s3, 1.0, v4
	v_cmp_eq_f32_e64 s4, 0, v5
	s_and_b32 s2, vcc_lo, s2
	s_and_b32 s3, s3, s4
	s_delay_alu instid0(SALU_CYCLE_1) | instskip(NEXT) | instid1(SALU_CYCLE_1)
	s_and_b32 s2, s2, s3
	s_xor_b32 s2, s2, -1
	s_delay_alu instid0(SALU_CYCLE_1)
	s_and_saveexec_b32 s3, s2
	s_cbranch_execz .LBB70_30
; %bb.1:
	v_mul_u32_u24_e32 v1, 0x5556, v0
	s_clause 0x1
	s_load_b32 s4, s[0:1], 0x4
	s_load_b64 s[2:3], s[0:1], 0x10
	v_and_b32_e32 v6, 0xffff, v0
	v_lshrrev_b32_e32 v1, 16, v1
	s_delay_alu instid0(VALU_DEP_1) | instskip(NEXT) | instid1(VALU_DEP_1)
	v_mul_lo_u16 v1, v1, 3
	v_sub_nc_u16 v1, v0, v1
	s_delay_alu instid0(VALU_DEP_1) | instskip(SKIP_3) | instid1(SALU_CYCLE_1)
	v_and_b32_e32 v8, 0xffff, v1
	s_wait_kmcnt 0x0
	s_cmp_lg_u32 s4, 1
	s_cselect_b32 s11, -1, 0
	s_and_b32 vcc_lo, exec_lo, s11
	v_mov_b32_e32 v1, v8
	s_cbranch_vccnz .LBB70_3
; %bb.2:
	v_mul_u32_u24_e32 v1, 0x13b2, v6
	s_delay_alu instid0(VALU_DEP_1) | instskip(NEXT) | instid1(VALU_DEP_1)
	v_lshrrev_b32_e32 v1, 16, v1
	v_mul_lo_u16 v7, 0x56, v1
	s_delay_alu instid0(VALU_DEP_1) | instskip(NEXT) | instid1(VALU_DEP_1)
	v_lshrrev_b16 v7, 8, v7
	v_mul_lo_u16 v7, v7, 3
	s_delay_alu instid0(VALU_DEP_1) | instskip(NEXT) | instid1(VALU_DEP_1)
	v_sub_nc_u16 v1, v1, v7
	v_and_b32_e32 v1, 0xff, v1
.LBB70_3:
	s_bfe_u32 s4, ttmp6, 0x4000c
	s_and_b32 s5, ttmp6, 15
	s_add_co_i32 s4, s4, 1
	s_getreg_b32 s6, hwreg(HW_REG_IB_STS2, 6, 4)
	s_mul_i32 s4, ttmp9, s4
	s_delay_alu instid0(SALU_CYCLE_1) | instskip(SKIP_2) | instid1(SALU_CYCLE_1)
	s_add_co_i32 s5, s5, s4
	s_cmp_eq_u32 s6, 0
	s_cselect_b32 s8, ttmp9, s5
	s_ashr_i32 s9, s8, 31
	s_delay_alu instid0(SALU_CYCLE_1) | instskip(NEXT) | instid1(SALU_CYCLE_1)
	s_lshl_b64 s[4:5], s[8:9], 2
	s_add_nc_u64 s[4:5], s[2:3], s[4:5]
	s_load_b64 s[14:15], s[4:5], 0x0
	s_load_b64 s[2:3], s[0:1], 0x40
	s_wait_kmcnt 0x0
	s_cmp_ge_i32 s14, s15
	s_cbranch_scc1 .LBB70_8
; %bb.4:
	s_clause 0x1
	s_load_b128 s[4:7], s[0:1], 0x18
	s_load_b64 s[12:13], s[0:1], 0x30
	v_mad_u32 v10, s14, 39, v0
	v_mul_u32_u24_e32 v9, 0x691, v6
	s_wait_xcnt 0x0
	s_mul_i32 s0, s10, 39
	v_mov_b64_e32 v[6:7], 0
	s_sub_co_i32 s1, s14, s10
	v_lshrrev_b32_e32 v9, 16, v9
	s_delay_alu instid0(VALU_DEP_4)
	v_subrev_nc_u32_e32 v10, s0, v10
	s_sub_co_i32 s0, s15, s10
	s_branch .LBB70_6
.LBB70_5:                               ;   in Loop: Header=BB70_6 Depth=1
	s_or_b32 exec_lo, exec_lo, s9
	v_add_nc_u32_e32 v10, 39, v10
	s_add_co_i32 s1, s1, 1
	s_delay_alu instid0(SALU_CYCLE_1)
	s_cmp_ge_i32 s1, s0
	s_cbranch_scc1 .LBB70_9
.LBB70_6:                               ; =>This Inner Loop Header: Depth=1
	s_delay_alu instid0(VALU_DEP_2) | instskip(SKIP_1) | instid1(VALU_DEP_1)
	v_add_nc_u32_e32 v11, s1, v9
	s_mov_b32 s9, exec_lo
	v_cmpx_gt_i32_e64 s0, v11
	s_cbranch_execz .LBB70_5
; %bb.7:                                ;   in Loop: Header=BB70_6 Depth=1
	s_wait_kmcnt 0x0
	global_load_b32 v11, v11, s[4:5] scale_offset
	s_wait_loadcnt 0x0
	v_subrev_nc_u32_e32 v11, s10, v11
	s_delay_alu instid0(VALU_DEP_1) | instskip(SKIP_4) | instid1(VALU_DEP_1)
	v_mad_u32 v11, v11, 3, v1
	global_load_b64 v[12:13], v11, s[12:13] scale_offset
	global_load_b64 v[14:15], v10, s[6:7] scale_offset
	s_wait_loadcnt 0x0
	v_pk_fma_f32 v[6:7], v[14:15], v[12:13], v[6:7] op_sel_hi:[1,0,1]
	v_pk_fma_f32 v[6:7], v[14:15], v[12:13], v[6:7] op_sel:[1,1,0] op_sel_hi:[0,1,1] neg_lo:[1,0,0]
	s_branch .LBB70_5
.LBB70_8:
	v_mov_b64_e32 v[6:7], 0
.LBB70_9:
	v_lshlrev_b32_e32 v1, 3, v0
	s_and_b32 vcc_lo, exec_lo, s11
	ds_store_b64 v1, v[6:7]
	s_wait_dscnt 0x0
	s_barrier_signal -1
	s_barrier_wait -1
	s_cbranch_vccz .LBB70_17
; %bb.10:
	v_cmp_eq_u16_e32 vcc_lo, 0, v8
	s_and_saveexec_b32 s0, vcc_lo
	s_cbranch_execz .LBB70_12
; %bb.11:
	ds_load_2addr_b64 v[8:11], v1 offset1:2
	s_wait_dscnt 0x0
	v_pk_add_f32 v[8:9], v[10:11], v[8:9]
	ds_store_b64 v1, v[8:9]
.LBB70_12:
	s_or_b32 exec_lo, exec_lo, s0
	s_wait_dscnt 0x0
	s_barrier_signal -1
	s_barrier_wait -1
	s_and_saveexec_b32 s0, vcc_lo
	s_cbranch_execz .LBB70_14
; %bb.13:
	ds_load_2addr_b64 v[8:11], v1 offset1:1
	s_wait_dscnt 0x0
	v_pk_add_f32 v[8:9], v[10:11], v[8:9]
	ds_store_b64 v1, v[8:9]
.LBB70_14:
	s_or_b32 exec_lo, exec_lo, s0
	v_mov_b64_e32 v[8:9], v[6:7]
	s_mov_b32 s0, exec_lo
	s_wait_dscnt 0x0
	s_barrier_signal -1
	s_barrier_wait -1
	v_cmpx_gt_u32_e32 13, v0
; %bb.15:
	v_lshl_add_u32 v8, v0, 4, v1
	ds_load_b64 v[8:9], v8
; %bb.16:
	s_or_b32 exec_lo, exec_lo, s0
	v_cmp_gt_u32_e64 s0, 13, v0
	s_branch .LBB70_25
.LBB70_17:
                                        ; implicit-def: $vgpr8_vgpr9
	v_cmp_gt_u32_e64 s0, 13, v0
	s_cbranch_execz .LBB70_25
; %bb.18:
	v_cmp_lt_u32_e32 vcc_lo, 12, v0
	s_and_saveexec_b32 s1, s0
	s_cbranch_execz .LBB70_20
; %bb.19:
	s_wait_dscnt 0x0
	ds_load_2addr_b64 v[8:11], v1 offset1:26
	s_wait_dscnt 0x0
	v_pk_add_f32 v[8:9], v[10:11], v[8:9]
	ds_store_b64 v1, v[8:9]
.LBB70_20:
	s_or_b32 exec_lo, exec_lo, s1
	s_wait_dscnt 0x0
	s_barrier_signal -1
	s_barrier_wait -1
	s_and_saveexec_b32 s0, vcc_lo
	s_delay_alu instid0(SALU_CYCLE_1)
	s_xor_b32 s0, exec_lo, s0
; %bb.21:
                                        ; implicit-def: $vgpr1
; %bb.22:
	s_delay_alu instid0(SALU_CYCLE_1)
	s_and_not1_saveexec_b32 s0, s0
	s_cbranch_execz .LBB70_24
; %bb.23:
	ds_load_2addr_b64 v[6:9], v1 offset1:13
	s_wait_dscnt 0x0
	v_pk_add_f32 v[6:7], v[8:9], v[6:7]
	ds_store_b64 v1, v[6:7]
	s_wait_dscnt 0x0
	ds_load_b64 v[6:7], v1
.LBB70_24:
	s_or_b32 exec_lo, exec_lo, s0
	s_wait_dscnt 0x0
	v_mov_b64_e32 v[8:9], v[6:7]
.LBB70_25:
	v_cmp_gt_u32_e32 vcc_lo, 13, v0
	s_and_b32 exec_lo, exec_lo, vcc_lo
	s_cbranch_execz .LBB70_30
; %bb.26:
	v_mad_u32 v6, s8, 13, v0
	v_cmp_eq_f32_e32 vcc_lo, 0, v4
	v_cmp_eq_f32_e64 s0, 0, v5
	v_xor_b32_e32 v0, 0x80000000, v3
	s_and_b32 s0, vcc_lo, s0
	s_delay_alu instid0(SALU_CYCLE_1) | instskip(NEXT) | instid1(SALU_CYCLE_1)
	s_and_saveexec_b32 s1, s0
	s_xor_b32 s0, exec_lo, s1
	s_cbranch_execz .LBB70_28
; %bb.27:
	v_mov_b32_e32 v1, v2
                                        ; implicit-def: $vgpr4_vgpr5
	s_wait_dscnt 0x0
	s_delay_alu instid0(VALU_DEP_1) | instskip(NEXT) | instid1(VALU_DEP_1)
	v_pk_mul_f32 v[0:1], v[8:9], v[0:1] op_sel:[1,0]
	v_pk_fma_f32 v[0:1], v[2:3], v[8:9], v[0:1] op_sel_hi:[1,0,1]
                                        ; implicit-def: $vgpr2_vgpr3
                                        ; implicit-def: $vgpr8_vgpr9
	global_store_b64 v6, v[0:1], s[2:3] scale_offset
                                        ; implicit-def: $vgpr6
                                        ; implicit-def: $vgpr0
.LBB70_28:
	s_wait_xcnt 0x0
	s_and_not1_saveexec_b32 s0, s0
	s_cbranch_execz .LBB70_30
; %bb.29:
	global_load_b64 v[10:11], v6, s[2:3] scale_offset
	v_mov_b32_e32 v1, v2
	s_wait_dscnt 0x0
	s_delay_alu instid0(VALU_DEP_1) | instskip(NEXT) | instid1(VALU_DEP_1)
	v_pk_mul_f32 v[0:1], v[8:9], v[0:1] op_sel:[1,0]
	v_pk_fma_f32 v[0:1], v[2:3], v[8:9], v[0:1] op_sel_hi:[1,0,1]
	v_xor_b32_e32 v2, 0x80000000, v5
	v_mov_b32_e32 v3, v4
	s_wait_loadcnt 0x0
	s_delay_alu instid0(VALU_DEP_3) | instskip(NEXT) | instid1(VALU_DEP_1)
	v_pk_fma_f32 v[0:1], v[4:5], v[10:11], v[0:1] op_sel_hi:[1,0,1]
	v_pk_fma_f32 v[0:1], v[2:3], v[10:11], v[0:1] op_sel:[0,1,0]
	global_store_b64 v6, v[0:1], s[2:3] scale_offset
.LBB70_30:
	s_endpgm
	.section	.rodata,"a",@progbits
	.p2align	6, 0x0
	.amdhsa_kernel _ZN9rocsparseL22gebsrmvn_mxn_16_kernelILj39ELj13ELj3E21rocsparse_complex_numIfEEEvi20rocsparse_direction_NS_24const_host_device_scalarIT2_EEPKiS8_PKS5_iiSA_S6_PS5_21rocsparse_index_base_b
		.amdhsa_group_segment_fixed_size 312
		.amdhsa_private_segment_fixed_size 0
		.amdhsa_kernarg_size 80
		.amdhsa_user_sgpr_count 2
		.amdhsa_user_sgpr_dispatch_ptr 0
		.amdhsa_user_sgpr_queue_ptr 0
		.amdhsa_user_sgpr_kernarg_segment_ptr 1
		.amdhsa_user_sgpr_dispatch_id 0
		.amdhsa_user_sgpr_kernarg_preload_length 0
		.amdhsa_user_sgpr_kernarg_preload_offset 0
		.amdhsa_user_sgpr_private_segment_size 0
		.amdhsa_wavefront_size32 1
		.amdhsa_uses_dynamic_stack 0
		.amdhsa_enable_private_segment 0
		.amdhsa_system_sgpr_workgroup_id_x 1
		.amdhsa_system_sgpr_workgroup_id_y 0
		.amdhsa_system_sgpr_workgroup_id_z 0
		.amdhsa_system_sgpr_workgroup_info 0
		.amdhsa_system_vgpr_workitem_id 0
		.amdhsa_next_free_vgpr 16
		.amdhsa_next_free_sgpr 16
		.amdhsa_named_barrier_count 0
		.amdhsa_reserve_vcc 1
		.amdhsa_float_round_mode_32 0
		.amdhsa_float_round_mode_16_64 0
		.amdhsa_float_denorm_mode_32 3
		.amdhsa_float_denorm_mode_16_64 3
		.amdhsa_fp16_overflow 0
		.amdhsa_memory_ordered 1
		.amdhsa_forward_progress 1
		.amdhsa_inst_pref_size 9
		.amdhsa_round_robin_scheduling 0
		.amdhsa_exception_fp_ieee_invalid_op 0
		.amdhsa_exception_fp_denorm_src 0
		.amdhsa_exception_fp_ieee_div_zero 0
		.amdhsa_exception_fp_ieee_overflow 0
		.amdhsa_exception_fp_ieee_underflow 0
		.amdhsa_exception_fp_ieee_inexact 0
		.amdhsa_exception_int_div_zero 0
	.end_amdhsa_kernel
	.section	.text._ZN9rocsparseL22gebsrmvn_mxn_16_kernelILj39ELj13ELj3E21rocsparse_complex_numIfEEEvi20rocsparse_direction_NS_24const_host_device_scalarIT2_EEPKiS8_PKS5_iiSA_S6_PS5_21rocsparse_index_base_b,"axG",@progbits,_ZN9rocsparseL22gebsrmvn_mxn_16_kernelILj39ELj13ELj3E21rocsparse_complex_numIfEEEvi20rocsparse_direction_NS_24const_host_device_scalarIT2_EEPKiS8_PKS5_iiSA_S6_PS5_21rocsparse_index_base_b,comdat
.Lfunc_end70:
	.size	_ZN9rocsparseL22gebsrmvn_mxn_16_kernelILj39ELj13ELj3E21rocsparse_complex_numIfEEEvi20rocsparse_direction_NS_24const_host_device_scalarIT2_EEPKiS8_PKS5_iiSA_S6_PS5_21rocsparse_index_base_b, .Lfunc_end70-_ZN9rocsparseL22gebsrmvn_mxn_16_kernelILj39ELj13ELj3E21rocsparse_complex_numIfEEEvi20rocsparse_direction_NS_24const_host_device_scalarIT2_EEPKiS8_PKS5_iiSA_S6_PS5_21rocsparse_index_base_b
                                        ; -- End function
	.set _ZN9rocsparseL22gebsrmvn_mxn_16_kernelILj39ELj13ELj3E21rocsparse_complex_numIfEEEvi20rocsparse_direction_NS_24const_host_device_scalarIT2_EEPKiS8_PKS5_iiSA_S6_PS5_21rocsparse_index_base_b.num_vgpr, 16
	.set _ZN9rocsparseL22gebsrmvn_mxn_16_kernelILj39ELj13ELj3E21rocsparse_complex_numIfEEEvi20rocsparse_direction_NS_24const_host_device_scalarIT2_EEPKiS8_PKS5_iiSA_S6_PS5_21rocsparse_index_base_b.num_agpr, 0
	.set _ZN9rocsparseL22gebsrmvn_mxn_16_kernelILj39ELj13ELj3E21rocsparse_complex_numIfEEEvi20rocsparse_direction_NS_24const_host_device_scalarIT2_EEPKiS8_PKS5_iiSA_S6_PS5_21rocsparse_index_base_b.numbered_sgpr, 16
	.set _ZN9rocsparseL22gebsrmvn_mxn_16_kernelILj39ELj13ELj3E21rocsparse_complex_numIfEEEvi20rocsparse_direction_NS_24const_host_device_scalarIT2_EEPKiS8_PKS5_iiSA_S6_PS5_21rocsparse_index_base_b.num_named_barrier, 0
	.set _ZN9rocsparseL22gebsrmvn_mxn_16_kernelILj39ELj13ELj3E21rocsparse_complex_numIfEEEvi20rocsparse_direction_NS_24const_host_device_scalarIT2_EEPKiS8_PKS5_iiSA_S6_PS5_21rocsparse_index_base_b.private_seg_size, 0
	.set _ZN9rocsparseL22gebsrmvn_mxn_16_kernelILj39ELj13ELj3E21rocsparse_complex_numIfEEEvi20rocsparse_direction_NS_24const_host_device_scalarIT2_EEPKiS8_PKS5_iiSA_S6_PS5_21rocsparse_index_base_b.uses_vcc, 1
	.set _ZN9rocsparseL22gebsrmvn_mxn_16_kernelILj39ELj13ELj3E21rocsparse_complex_numIfEEEvi20rocsparse_direction_NS_24const_host_device_scalarIT2_EEPKiS8_PKS5_iiSA_S6_PS5_21rocsparse_index_base_b.uses_flat_scratch, 1
	.set _ZN9rocsparseL22gebsrmvn_mxn_16_kernelILj39ELj13ELj3E21rocsparse_complex_numIfEEEvi20rocsparse_direction_NS_24const_host_device_scalarIT2_EEPKiS8_PKS5_iiSA_S6_PS5_21rocsparse_index_base_b.has_dyn_sized_stack, 0
	.set _ZN9rocsparseL22gebsrmvn_mxn_16_kernelILj39ELj13ELj3E21rocsparse_complex_numIfEEEvi20rocsparse_direction_NS_24const_host_device_scalarIT2_EEPKiS8_PKS5_iiSA_S6_PS5_21rocsparse_index_base_b.has_recursion, 0
	.set _ZN9rocsparseL22gebsrmvn_mxn_16_kernelILj39ELj13ELj3E21rocsparse_complex_numIfEEEvi20rocsparse_direction_NS_24const_host_device_scalarIT2_EEPKiS8_PKS5_iiSA_S6_PS5_21rocsparse_index_base_b.has_indirect_call, 0
	.section	.AMDGPU.csdata,"",@progbits
; Kernel info:
; codeLenInByte = 1152
; TotalNumSgprs: 18
; NumVgprs: 16
; ScratchSize: 0
; MemoryBound: 0
; FloatMode: 240
; IeeeMode: 1
; LDSByteSize: 312 bytes/workgroup (compile time only)
; SGPRBlocks: 0
; VGPRBlocks: 0
; NumSGPRsForWavesPerEU: 18
; NumVGPRsForWavesPerEU: 16
; NamedBarCnt: 0
; Occupancy: 16
; WaveLimiterHint : 1
; COMPUTE_PGM_RSRC2:SCRATCH_EN: 0
; COMPUTE_PGM_RSRC2:USER_SGPR: 2
; COMPUTE_PGM_RSRC2:TRAP_HANDLER: 0
; COMPUTE_PGM_RSRC2:TGID_X_EN: 1
; COMPUTE_PGM_RSRC2:TGID_Y_EN: 0
; COMPUTE_PGM_RSRC2:TGID_Z_EN: 0
; COMPUTE_PGM_RSRC2:TIDIG_COMP_CNT: 0
	.section	.text._ZN9rocsparseL22gebsrmvn_mxn_16_kernelILj52ELj13ELj4E21rocsparse_complex_numIfEEEvi20rocsparse_direction_NS_24const_host_device_scalarIT2_EEPKiS8_PKS5_iiSA_S6_PS5_21rocsparse_index_base_b,"axG",@progbits,_ZN9rocsparseL22gebsrmvn_mxn_16_kernelILj52ELj13ELj4E21rocsparse_complex_numIfEEEvi20rocsparse_direction_NS_24const_host_device_scalarIT2_EEPKiS8_PKS5_iiSA_S6_PS5_21rocsparse_index_base_b,comdat
	.globl	_ZN9rocsparseL22gebsrmvn_mxn_16_kernelILj52ELj13ELj4E21rocsparse_complex_numIfEEEvi20rocsparse_direction_NS_24const_host_device_scalarIT2_EEPKiS8_PKS5_iiSA_S6_PS5_21rocsparse_index_base_b ; -- Begin function _ZN9rocsparseL22gebsrmvn_mxn_16_kernelILj52ELj13ELj4E21rocsparse_complex_numIfEEEvi20rocsparse_direction_NS_24const_host_device_scalarIT2_EEPKiS8_PKS5_iiSA_S6_PS5_21rocsparse_index_base_b
	.p2align	8
	.type	_ZN9rocsparseL22gebsrmvn_mxn_16_kernelILj52ELj13ELj4E21rocsparse_complex_numIfEEEvi20rocsparse_direction_NS_24const_host_device_scalarIT2_EEPKiS8_PKS5_iiSA_S6_PS5_21rocsparse_index_base_b,@function
_ZN9rocsparseL22gebsrmvn_mxn_16_kernelILj52ELj13ELj4E21rocsparse_complex_numIfEEEvi20rocsparse_direction_NS_24const_host_device_scalarIT2_EEPKiS8_PKS5_iiSA_S6_PS5_21rocsparse_index_base_b: ; @_ZN9rocsparseL22gebsrmvn_mxn_16_kernelILj52ELj13ELj4E21rocsparse_complex_numIfEEEvi20rocsparse_direction_NS_24const_host_device_scalarIT2_EEPKiS8_PKS5_iiSA_S6_PS5_21rocsparse_index_base_b
; %bb.0:
	s_clause 0x2
	s_load_b64 s[10:11], s[0:1], 0x48
	s_load_b64 s[2:3], s[0:1], 0x8
	;; [unrolled: 1-line block ×3, first 2 shown]
	v_mov_b32_e32 v1, 0
	s_add_nc_u64 s[6:7], s[0:1], 8
	s_add_nc_u64 s[8:9], s[0:1], 56
	s_wait_kmcnt 0x0
	s_bitcmp1_b32 s11, 0
	s_cselect_b32 s3, s7, s3
	s_cselect_b32 s2, s6, s2
	s_cselect_b32 s5, s9, s5
	s_cselect_b32 s4, s8, s4
	s_clause 0x1
	flat_load_b64 v[2:3], v1, s[2:3]
	flat_load_b64 v[4:5], v1, s[4:5]
	s_wait_loadcnt_dscnt 0x101
	v_cmp_eq_f32_e32 vcc_lo, 0, v2
	v_cmp_eq_f32_e64 s2, 0, v3
	s_wait_loadcnt_dscnt 0x0
	v_cmp_eq_f32_e64 s3, 1.0, v4
	v_cmp_eq_f32_e64 s4, 0, v5
	s_and_b32 s2, vcc_lo, s2
	s_and_b32 s3, s3, s4
	s_delay_alu instid0(SALU_CYCLE_1) | instskip(NEXT) | instid1(SALU_CYCLE_1)
	s_and_b32 s2, s2, s3
	s_xor_b32 s2, s2, -1
	s_delay_alu instid0(SALU_CYCLE_1)
	s_and_saveexec_b32 s3, s2
	s_cbranch_execz .LBB71_30
; %bb.1:
	s_clause 0x1
	s_load_b32 s4, s[0:1], 0x4
	s_load_b64 s[2:3], s[0:1], 0x10
	v_and_b32_e32 v1, 3, v0
	s_delay_alu instid0(VALU_DEP_1) | instskip(SKIP_3) | instid1(SALU_CYCLE_1)
	v_mov_b32_e32 v8, v1
	s_wait_kmcnt 0x0
	s_cmp_lg_u32 s4, 1
	s_cselect_b32 s11, -1, 0
	s_and_b32 vcc_lo, exec_lo, s11
	s_cbranch_vccnz .LBB71_3
; %bb.2:
	v_mul_u32_u24_e32 v6, 0x13b2, v0
	s_delay_alu instid0(VALU_DEP_1)
	v_bfe_u32 v8, v6, 16, 2
.LBB71_3:
	s_bfe_u32 s4, ttmp6, 0x4000c
	s_and_b32 s5, ttmp6, 15
	s_add_co_i32 s4, s4, 1
	s_getreg_b32 s6, hwreg(HW_REG_IB_STS2, 6, 4)
	s_mul_i32 s4, ttmp9, s4
	s_delay_alu instid0(SALU_CYCLE_1) | instskip(SKIP_2) | instid1(SALU_CYCLE_1)
	s_add_co_i32 s5, s5, s4
	s_cmp_eq_u32 s6, 0
	s_cselect_b32 s8, ttmp9, s5
	s_ashr_i32 s9, s8, 31
	s_delay_alu instid0(SALU_CYCLE_1) | instskip(NEXT) | instid1(SALU_CYCLE_1)
	s_lshl_b64 s[4:5], s[8:9], 2
	s_add_nc_u64 s[4:5], s[2:3], s[4:5]
	s_load_b64 s[14:15], s[4:5], 0x0
	s_load_b64 s[2:3], s[0:1], 0x40
	s_wait_kmcnt 0x0
	s_cmp_ge_i32 s14, s15
	s_cbranch_scc1 .LBB71_8
; %bb.4:
	s_clause 0x1
	s_load_b128 s[4:7], s[0:1], 0x18
	s_load_b64 s[12:13], s[0:1], 0x30
	v_mad_u32 v10, s14, 52, v0
	v_mul_u32_u24_e32 v9, 0x4ed, v0
	s_wait_xcnt 0x0
	s_mul_i32 s0, s10, 52
	v_mov_b64_e32 v[6:7], 0
	s_sub_co_i32 s1, s14, s10
	v_lshrrev_b32_e32 v9, 16, v9
	s_delay_alu instid0(VALU_DEP_4)
	v_subrev_nc_u32_e32 v10, s0, v10
	s_sub_co_i32 s0, s15, s10
	s_branch .LBB71_6
.LBB71_5:                               ;   in Loop: Header=BB71_6 Depth=1
	s_or_b32 exec_lo, exec_lo, s9
	v_add_nc_u32_e32 v10, 52, v10
	s_add_co_i32 s1, s1, 1
	s_delay_alu instid0(SALU_CYCLE_1)
	s_cmp_ge_i32 s1, s0
	s_cbranch_scc1 .LBB71_9
.LBB71_6:                               ; =>This Inner Loop Header: Depth=1
	s_delay_alu instid0(VALU_DEP_2) | instskip(SKIP_1) | instid1(VALU_DEP_1)
	v_add_nc_u32_e32 v11, s1, v9
	s_mov_b32 s9, exec_lo
	v_cmpx_gt_i32_e64 s0, v11
	s_cbranch_execz .LBB71_5
; %bb.7:                                ;   in Loop: Header=BB71_6 Depth=1
	s_wait_kmcnt 0x0
	global_load_b32 v11, v11, s[4:5] scale_offset
	s_wait_loadcnt 0x0
	v_subrev_nc_u32_e32 v11, s10, v11
	s_delay_alu instid0(VALU_DEP_1) | instskip(SKIP_4) | instid1(VALU_DEP_1)
	v_lshl_or_b32 v11, v11, 2, v8
	global_load_b64 v[12:13], v11, s[12:13] scale_offset
	global_load_b64 v[14:15], v10, s[6:7] scale_offset
	s_wait_loadcnt 0x0
	v_pk_fma_f32 v[6:7], v[14:15], v[12:13], v[6:7] op_sel_hi:[1,0,1]
	v_pk_fma_f32 v[6:7], v[14:15], v[12:13], v[6:7] op_sel:[1,1,0] op_sel_hi:[0,1,1] neg_lo:[1,0,0]
	s_branch .LBB71_5
.LBB71_8:
	v_mov_b64_e32 v[6:7], 0
.LBB71_9:
	v_lshlrev_b32_e32 v10, 3, v0
	s_and_b32 vcc_lo, exec_lo, s11
	ds_store_b64 v10, v[6:7]
	s_wait_dscnt 0x0
	s_barrier_signal -1
	s_barrier_wait -1
	s_cbranch_vccz .LBB71_17
; %bb.10:
	s_mov_b32 s0, exec_lo
	v_cmpx_gt_u32_e32 2, v1
	s_cbranch_execz .LBB71_12
; %bb.11:
	ds_load_2addr_b64 v[12:15], v10 offset1:2
	s_wait_dscnt 0x0
	v_pk_add_f32 v[8:9], v[14:15], v[12:13]
	ds_store_b64 v10, v[8:9]
.LBB71_12:
	s_or_b32 exec_lo, exec_lo, s0
	s_delay_alu instid0(SALU_CYCLE_1)
	s_mov_b32 s0, exec_lo
	s_wait_dscnt 0x0
	s_barrier_signal -1
	s_barrier_wait -1
	v_cmpx_eq_u32_e32 0, v1
	s_cbranch_execz .LBB71_14
; %bb.13:
	ds_load_2addr_b64 v[12:15], v10 offset1:1
	s_wait_dscnt 0x0
	v_pk_add_f32 v[8:9], v[14:15], v[12:13]
	ds_store_b64 v10, v[8:9]
.LBB71_14:
	s_or_b32 exec_lo, exec_lo, s0
	v_mov_b64_e32 v[8:9], v[6:7]
	s_mov_b32 s0, exec_lo
	s_wait_dscnt 0x0
	s_barrier_signal -1
	s_barrier_wait -1
	v_cmpx_gt_u32_e32 13, v0
; %bb.15:
	v_mad_u32_u24 v1, v0, 24, v10
	ds_load_b64 v[8:9], v1
; %bb.16:
	s_or_b32 exec_lo, exec_lo, s0
	s_branch .LBB71_25
.LBB71_17:
                                        ; implicit-def: $vgpr8_vgpr9
	s_cbranch_execz .LBB71_25
; %bb.18:
	s_mov_b32 s0, exec_lo
	v_cmpx_gt_u32_e32 26, v0
	s_cbranch_execz .LBB71_20
; %bb.19:
	ds_load_2addr_b64 v[12:15], v10 offset1:26
	s_wait_dscnt 0x0
	v_pk_add_f32 v[8:9], v[14:15], v[12:13]
	ds_store_b64 v10, v[8:9]
.LBB71_20:
	s_or_b32 exec_lo, exec_lo, s0
	s_delay_alu instid0(SALU_CYCLE_1)
	s_mov_b32 s0, exec_lo
	s_wait_dscnt 0x0
	v_cmpx_lt_u32_e32 12, v0
	s_xor_b32 s0, exec_lo, s0
; %bb.21:
                                        ; implicit-def: $vgpr10
; %bb.22:
	s_delay_alu instid0(SALU_CYCLE_1)
	s_and_not1_saveexec_b32 s0, s0
	s_cbranch_execz .LBB71_24
; %bb.23:
	ds_load_2addr_b64 v[6:9], v10 offset1:13
	s_wait_dscnt 0x0
	v_pk_add_f32 v[6:7], v[8:9], v[6:7]
	ds_store_b64 v10, v[6:7]
	s_wait_dscnt 0x0
	ds_load_b64 v[6:7], v10
.LBB71_24:
	s_or_b32 exec_lo, exec_lo, s0
	s_wait_dscnt 0x0
	v_mov_b64_e32 v[8:9], v[6:7]
.LBB71_25:
	v_cmp_gt_u32_e32 vcc_lo, 13, v0
	s_and_b32 exec_lo, exec_lo, vcc_lo
	s_cbranch_execz .LBB71_30
; %bb.26:
	v_mad_u32 v6, s8, 13, v0
	v_cmp_eq_f32_e32 vcc_lo, 0, v4
	v_cmp_eq_f32_e64 s0, 0, v5
	v_xor_b32_e32 v0, 0x80000000, v3
	s_and_b32 s0, vcc_lo, s0
	s_delay_alu instid0(SALU_CYCLE_1) | instskip(NEXT) | instid1(SALU_CYCLE_1)
	s_and_saveexec_b32 s1, s0
	s_xor_b32 s0, exec_lo, s1
	s_cbranch_execz .LBB71_28
; %bb.27:
	v_mov_b32_e32 v1, v2
                                        ; implicit-def: $vgpr4_vgpr5
	s_wait_dscnt 0x0
	s_delay_alu instid0(VALU_DEP_1) | instskip(NEXT) | instid1(VALU_DEP_1)
	v_pk_mul_f32 v[0:1], v[8:9], v[0:1] op_sel:[1,0]
	v_pk_fma_f32 v[0:1], v[2:3], v[8:9], v[0:1] op_sel_hi:[1,0,1]
                                        ; implicit-def: $vgpr2_vgpr3
                                        ; implicit-def: $vgpr8_vgpr9
	global_store_b64 v6, v[0:1], s[2:3] scale_offset
                                        ; implicit-def: $vgpr6
                                        ; implicit-def: $vgpr0
.LBB71_28:
	s_wait_xcnt 0x0
	s_and_not1_saveexec_b32 s0, s0
	s_cbranch_execz .LBB71_30
; %bb.29:
	global_load_b64 v[10:11], v6, s[2:3] scale_offset
	v_mov_b32_e32 v1, v2
	s_wait_dscnt 0x0
	s_delay_alu instid0(VALU_DEP_1) | instskip(NEXT) | instid1(VALU_DEP_1)
	v_pk_mul_f32 v[0:1], v[8:9], v[0:1] op_sel:[1,0]
	v_pk_fma_f32 v[0:1], v[2:3], v[8:9], v[0:1] op_sel_hi:[1,0,1]
	v_xor_b32_e32 v2, 0x80000000, v5
	v_mov_b32_e32 v3, v4
	s_wait_loadcnt 0x0
	s_delay_alu instid0(VALU_DEP_3) | instskip(NEXT) | instid1(VALU_DEP_1)
	v_pk_fma_f32 v[0:1], v[4:5], v[10:11], v[0:1] op_sel_hi:[1,0,1]
	v_pk_fma_f32 v[0:1], v[2:3], v[10:11], v[0:1] op_sel:[0,1,0]
	global_store_b64 v6, v[0:1], s[2:3] scale_offset
.LBB71_30:
	s_endpgm
	.section	.rodata,"a",@progbits
	.p2align	6, 0x0
	.amdhsa_kernel _ZN9rocsparseL22gebsrmvn_mxn_16_kernelILj52ELj13ELj4E21rocsparse_complex_numIfEEEvi20rocsparse_direction_NS_24const_host_device_scalarIT2_EEPKiS8_PKS5_iiSA_S6_PS5_21rocsparse_index_base_b
		.amdhsa_group_segment_fixed_size 416
		.amdhsa_private_segment_fixed_size 0
		.amdhsa_kernarg_size 80
		.amdhsa_user_sgpr_count 2
		.amdhsa_user_sgpr_dispatch_ptr 0
		.amdhsa_user_sgpr_queue_ptr 0
		.amdhsa_user_sgpr_kernarg_segment_ptr 1
		.amdhsa_user_sgpr_dispatch_id 0
		.amdhsa_user_sgpr_kernarg_preload_length 0
		.amdhsa_user_sgpr_kernarg_preload_offset 0
		.amdhsa_user_sgpr_private_segment_size 0
		.amdhsa_wavefront_size32 1
		.amdhsa_uses_dynamic_stack 0
		.amdhsa_enable_private_segment 0
		.amdhsa_system_sgpr_workgroup_id_x 1
		.amdhsa_system_sgpr_workgroup_id_y 0
		.amdhsa_system_sgpr_workgroup_id_z 0
		.amdhsa_system_sgpr_workgroup_info 0
		.amdhsa_system_vgpr_workitem_id 0
		.amdhsa_next_free_vgpr 16
		.amdhsa_next_free_sgpr 16
		.amdhsa_named_barrier_count 0
		.amdhsa_reserve_vcc 1
		.amdhsa_float_round_mode_32 0
		.amdhsa_float_round_mode_16_64 0
		.amdhsa_float_denorm_mode_32 3
		.amdhsa_float_denorm_mode_16_64 3
		.amdhsa_fp16_overflow 0
		.amdhsa_memory_ordered 1
		.amdhsa_forward_progress 1
		.amdhsa_inst_pref_size 9
		.amdhsa_round_robin_scheduling 0
		.amdhsa_exception_fp_ieee_invalid_op 0
		.amdhsa_exception_fp_denorm_src 0
		.amdhsa_exception_fp_ieee_div_zero 0
		.amdhsa_exception_fp_ieee_overflow 0
		.amdhsa_exception_fp_ieee_underflow 0
		.amdhsa_exception_fp_ieee_inexact 0
		.amdhsa_exception_int_div_zero 0
	.end_amdhsa_kernel
	.section	.text._ZN9rocsparseL22gebsrmvn_mxn_16_kernelILj52ELj13ELj4E21rocsparse_complex_numIfEEEvi20rocsparse_direction_NS_24const_host_device_scalarIT2_EEPKiS8_PKS5_iiSA_S6_PS5_21rocsparse_index_base_b,"axG",@progbits,_ZN9rocsparseL22gebsrmvn_mxn_16_kernelILj52ELj13ELj4E21rocsparse_complex_numIfEEEvi20rocsparse_direction_NS_24const_host_device_scalarIT2_EEPKiS8_PKS5_iiSA_S6_PS5_21rocsparse_index_base_b,comdat
.Lfunc_end71:
	.size	_ZN9rocsparseL22gebsrmvn_mxn_16_kernelILj52ELj13ELj4E21rocsparse_complex_numIfEEEvi20rocsparse_direction_NS_24const_host_device_scalarIT2_EEPKiS8_PKS5_iiSA_S6_PS5_21rocsparse_index_base_b, .Lfunc_end71-_ZN9rocsparseL22gebsrmvn_mxn_16_kernelILj52ELj13ELj4E21rocsparse_complex_numIfEEEvi20rocsparse_direction_NS_24const_host_device_scalarIT2_EEPKiS8_PKS5_iiSA_S6_PS5_21rocsparse_index_base_b
                                        ; -- End function
	.set _ZN9rocsparseL22gebsrmvn_mxn_16_kernelILj52ELj13ELj4E21rocsparse_complex_numIfEEEvi20rocsparse_direction_NS_24const_host_device_scalarIT2_EEPKiS8_PKS5_iiSA_S6_PS5_21rocsparse_index_base_b.num_vgpr, 16
	.set _ZN9rocsparseL22gebsrmvn_mxn_16_kernelILj52ELj13ELj4E21rocsparse_complex_numIfEEEvi20rocsparse_direction_NS_24const_host_device_scalarIT2_EEPKiS8_PKS5_iiSA_S6_PS5_21rocsparse_index_base_b.num_agpr, 0
	.set _ZN9rocsparseL22gebsrmvn_mxn_16_kernelILj52ELj13ELj4E21rocsparse_complex_numIfEEEvi20rocsparse_direction_NS_24const_host_device_scalarIT2_EEPKiS8_PKS5_iiSA_S6_PS5_21rocsparse_index_base_b.numbered_sgpr, 16
	.set _ZN9rocsparseL22gebsrmvn_mxn_16_kernelILj52ELj13ELj4E21rocsparse_complex_numIfEEEvi20rocsparse_direction_NS_24const_host_device_scalarIT2_EEPKiS8_PKS5_iiSA_S6_PS5_21rocsparse_index_base_b.num_named_barrier, 0
	.set _ZN9rocsparseL22gebsrmvn_mxn_16_kernelILj52ELj13ELj4E21rocsparse_complex_numIfEEEvi20rocsparse_direction_NS_24const_host_device_scalarIT2_EEPKiS8_PKS5_iiSA_S6_PS5_21rocsparse_index_base_b.private_seg_size, 0
	.set _ZN9rocsparseL22gebsrmvn_mxn_16_kernelILj52ELj13ELj4E21rocsparse_complex_numIfEEEvi20rocsparse_direction_NS_24const_host_device_scalarIT2_EEPKiS8_PKS5_iiSA_S6_PS5_21rocsparse_index_base_b.uses_vcc, 1
	.set _ZN9rocsparseL22gebsrmvn_mxn_16_kernelILj52ELj13ELj4E21rocsparse_complex_numIfEEEvi20rocsparse_direction_NS_24const_host_device_scalarIT2_EEPKiS8_PKS5_iiSA_S6_PS5_21rocsparse_index_base_b.uses_flat_scratch, 1
	.set _ZN9rocsparseL22gebsrmvn_mxn_16_kernelILj52ELj13ELj4E21rocsparse_complex_numIfEEEvi20rocsparse_direction_NS_24const_host_device_scalarIT2_EEPKiS8_PKS5_iiSA_S6_PS5_21rocsparse_index_base_b.has_dyn_sized_stack, 0
	.set _ZN9rocsparseL22gebsrmvn_mxn_16_kernelILj52ELj13ELj4E21rocsparse_complex_numIfEEEvi20rocsparse_direction_NS_24const_host_device_scalarIT2_EEPKiS8_PKS5_iiSA_S6_PS5_21rocsparse_index_base_b.has_recursion, 0
	.set _ZN9rocsparseL22gebsrmvn_mxn_16_kernelILj52ELj13ELj4E21rocsparse_complex_numIfEEEvi20rocsparse_direction_NS_24const_host_device_scalarIT2_EEPKiS8_PKS5_iiSA_S6_PS5_21rocsparse_index_base_b.has_indirect_call, 0
	.section	.AMDGPU.csdata,"",@progbits
; Kernel info:
; codeLenInByte = 1044
; TotalNumSgprs: 18
; NumVgprs: 16
; ScratchSize: 0
; MemoryBound: 0
; FloatMode: 240
; IeeeMode: 1
; LDSByteSize: 416 bytes/workgroup (compile time only)
; SGPRBlocks: 0
; VGPRBlocks: 0
; NumSGPRsForWavesPerEU: 18
; NumVGPRsForWavesPerEU: 16
; NamedBarCnt: 0
; Occupancy: 16
; WaveLimiterHint : 1
; COMPUTE_PGM_RSRC2:SCRATCH_EN: 0
; COMPUTE_PGM_RSRC2:USER_SGPR: 2
; COMPUTE_PGM_RSRC2:TRAP_HANDLER: 0
; COMPUTE_PGM_RSRC2:TGID_X_EN: 1
; COMPUTE_PGM_RSRC2:TGID_Y_EN: 0
; COMPUTE_PGM_RSRC2:TGID_Z_EN: 0
; COMPUTE_PGM_RSRC2:TIDIG_COMP_CNT: 0
	.section	.text._ZN9rocsparseL22gebsrmvn_mxn_16_kernelILj65ELj13ELj5E21rocsparse_complex_numIfEEEvi20rocsparse_direction_NS_24const_host_device_scalarIT2_EEPKiS8_PKS5_iiSA_S6_PS5_21rocsparse_index_base_b,"axG",@progbits,_ZN9rocsparseL22gebsrmvn_mxn_16_kernelILj65ELj13ELj5E21rocsparse_complex_numIfEEEvi20rocsparse_direction_NS_24const_host_device_scalarIT2_EEPKiS8_PKS5_iiSA_S6_PS5_21rocsparse_index_base_b,comdat
	.globl	_ZN9rocsparseL22gebsrmvn_mxn_16_kernelILj65ELj13ELj5E21rocsparse_complex_numIfEEEvi20rocsparse_direction_NS_24const_host_device_scalarIT2_EEPKiS8_PKS5_iiSA_S6_PS5_21rocsparse_index_base_b ; -- Begin function _ZN9rocsparseL22gebsrmvn_mxn_16_kernelILj65ELj13ELj5E21rocsparse_complex_numIfEEEvi20rocsparse_direction_NS_24const_host_device_scalarIT2_EEPKiS8_PKS5_iiSA_S6_PS5_21rocsparse_index_base_b
	.p2align	8
	.type	_ZN9rocsparseL22gebsrmvn_mxn_16_kernelILj65ELj13ELj5E21rocsparse_complex_numIfEEEvi20rocsparse_direction_NS_24const_host_device_scalarIT2_EEPKiS8_PKS5_iiSA_S6_PS5_21rocsparse_index_base_b,@function
_ZN9rocsparseL22gebsrmvn_mxn_16_kernelILj65ELj13ELj5E21rocsparse_complex_numIfEEEvi20rocsparse_direction_NS_24const_host_device_scalarIT2_EEPKiS8_PKS5_iiSA_S6_PS5_21rocsparse_index_base_b: ; @_ZN9rocsparseL22gebsrmvn_mxn_16_kernelILj65ELj13ELj5E21rocsparse_complex_numIfEEEvi20rocsparse_direction_NS_24const_host_device_scalarIT2_EEPKiS8_PKS5_iiSA_S6_PS5_21rocsparse_index_base_b
; %bb.0:
	s_clause 0x2
	s_load_b64 s[10:11], s[0:1], 0x48
	s_load_b64 s[2:3], s[0:1], 0x8
	;; [unrolled: 1-line block ×3, first 2 shown]
	v_mov_b32_e32 v1, 0
	s_add_nc_u64 s[6:7], s[0:1], 8
	s_add_nc_u64 s[8:9], s[0:1], 56
	s_wait_kmcnt 0x0
	s_bitcmp1_b32 s11, 0
	s_cselect_b32 s3, s7, s3
	s_cselect_b32 s2, s6, s2
	;; [unrolled: 1-line block ×4, first 2 shown]
	s_clause 0x1
	flat_load_b64 v[2:3], v1, s[2:3]
	flat_load_b64 v[4:5], v1, s[4:5]
	s_wait_loadcnt_dscnt 0x101
	v_cmp_eq_f32_e32 vcc_lo, 0, v2
	v_cmp_eq_f32_e64 s2, 0, v3
	s_wait_loadcnt_dscnt 0x0
	v_cmp_eq_f32_e64 s3, 1.0, v4
	v_cmp_eq_f32_e64 s4, 0, v5
	s_and_b32 s2, vcc_lo, s2
	s_and_b32 s3, s3, s4
	s_delay_alu instid0(SALU_CYCLE_1) | instskip(NEXT) | instid1(SALU_CYCLE_1)
	s_and_b32 s2, s2, s3
	s_xor_b32 s2, s2, -1
	s_delay_alu instid0(SALU_CYCLE_1)
	s_and_saveexec_b32 s3, s2
	s_cbranch_execz .LBB72_34
; %bb.1:
	v_mul_u32_u24_e32 v1, 0x3334, v0
	s_clause 0x1
	s_load_b32 s4, s[0:1], 0x4
	s_load_b64 s[2:3], s[0:1], 0x10
	v_and_b32_e32 v6, 0xffff, v0
	v_lshrrev_b32_e32 v1, 16, v1
	s_delay_alu instid0(VALU_DEP_1) | instskip(NEXT) | instid1(VALU_DEP_1)
	v_mul_lo_u16 v1, v1, 5
	v_sub_nc_u16 v1, v0, v1
	s_delay_alu instid0(VALU_DEP_1) | instskip(SKIP_3) | instid1(SALU_CYCLE_1)
	v_and_b32_e32 v8, 0xffff, v1
	s_wait_kmcnt 0x0
	s_cmp_lg_u32 s4, 1
	s_cselect_b32 s11, -1, 0
	s_and_b32 vcc_lo, exec_lo, s11
	v_mov_b32_e32 v1, v8
	s_cbranch_vccnz .LBB72_3
; %bb.2:
	v_mul_u32_u24_e32 v1, 0x13b2, v6
	s_delay_alu instid0(VALU_DEP_1) | instskip(NEXT) | instid1(VALU_DEP_1)
	v_lshrrev_b32_e32 v1, 16, v1
	v_mul_lo_u16 v7, v1, 52
	s_delay_alu instid0(VALU_DEP_1) | instskip(NEXT) | instid1(VALU_DEP_1)
	v_lshrrev_b16 v7, 8, v7
	v_mul_lo_u16 v7, v7, 5
	s_delay_alu instid0(VALU_DEP_1) | instskip(NEXT) | instid1(VALU_DEP_1)
	v_sub_nc_u16 v1, v1, v7
	v_and_b32_e32 v1, 0xff, v1
.LBB72_3:
	s_bfe_u32 s4, ttmp6, 0x4000c
	s_and_b32 s5, ttmp6, 15
	s_add_co_i32 s4, s4, 1
	s_getreg_b32 s6, hwreg(HW_REG_IB_STS2, 6, 4)
	s_mul_i32 s4, ttmp9, s4
	s_delay_alu instid0(SALU_CYCLE_1) | instskip(SKIP_2) | instid1(SALU_CYCLE_1)
	s_add_co_i32 s5, s5, s4
	s_cmp_eq_u32 s6, 0
	s_cselect_b32 s8, ttmp9, s5
	s_ashr_i32 s9, s8, 31
	s_delay_alu instid0(SALU_CYCLE_1) | instskip(NEXT) | instid1(SALU_CYCLE_1)
	s_lshl_b64 s[4:5], s[8:9], 2
	s_add_nc_u64 s[4:5], s[2:3], s[4:5]
	s_load_b64 s[14:15], s[4:5], 0x0
	s_load_b64 s[2:3], s[0:1], 0x40
	s_wait_kmcnt 0x0
	s_cmp_ge_i32 s14, s15
	s_cbranch_scc1 .LBB72_8
; %bb.4:
	s_clause 0x1
	s_load_b128 s[4:7], s[0:1], 0x18
	s_load_b64 s[12:13], s[0:1], 0x30
	v_mad_u32 v10, 0x41, s14, v0
	v_mul_u32_u24_e32 v9, 0x3f1, v6
	s_wait_xcnt 0x0
	s_mul_i32 s0, s10, 0x41
	v_mov_b64_e32 v[6:7], 0
	s_sub_co_i32 s1, s14, s10
	v_lshrrev_b32_e32 v9, 16, v9
	s_delay_alu instid0(VALU_DEP_4)
	v_subrev_nc_u32_e32 v10, s0, v10
	s_sub_co_i32 s0, s15, s10
	s_branch .LBB72_6
.LBB72_5:                               ;   in Loop: Header=BB72_6 Depth=1
	s_or_b32 exec_lo, exec_lo, s9
	v_add_nc_u32_e32 v10, 0x41, v10
	s_add_co_i32 s1, s1, 1
	s_delay_alu instid0(SALU_CYCLE_1)
	s_cmp_ge_i32 s1, s0
	s_cbranch_scc1 .LBB72_9
.LBB72_6:                               ; =>This Inner Loop Header: Depth=1
	s_delay_alu instid0(VALU_DEP_2) | instskip(SKIP_1) | instid1(VALU_DEP_1)
	v_add_nc_u32_e32 v11, s1, v9
	s_mov_b32 s9, exec_lo
	v_cmpx_gt_i32_e64 s0, v11
	s_cbranch_execz .LBB72_5
; %bb.7:                                ;   in Loop: Header=BB72_6 Depth=1
	s_wait_kmcnt 0x0
	global_load_b32 v11, v11, s[4:5] scale_offset
	s_wait_loadcnt 0x0
	v_subrev_nc_u32_e32 v11, s10, v11
	s_delay_alu instid0(VALU_DEP_1) | instskip(SKIP_4) | instid1(VALU_DEP_1)
	v_mad_u32 v11, v11, 5, v1
	global_load_b64 v[12:13], v11, s[12:13] scale_offset
	global_load_b64 v[14:15], v10, s[6:7] scale_offset
	s_wait_loadcnt 0x0
	v_pk_fma_f32 v[6:7], v[14:15], v[12:13], v[6:7] op_sel_hi:[1,0,1]
	v_pk_fma_f32 v[6:7], v[14:15], v[12:13], v[6:7] op_sel:[1,1,0] op_sel_hi:[0,1,1] neg_lo:[1,0,0]
	s_branch .LBB72_5
.LBB72_8:
	v_mov_b64_e32 v[6:7], 0
.LBB72_9:
	v_lshlrev_b32_e32 v1, 3, v0
	s_and_b32 vcc_lo, exec_lo, s11
	ds_store_b64 v1, v[6:7]
	s_wait_dscnt 0x0
	s_barrier_signal -1
	s_barrier_wait -1
	s_cbranch_vccz .LBB72_19
; %bb.10:
	v_cmp_eq_u16_e32 vcc_lo, 0, v8
	s_and_saveexec_b32 s0, vcc_lo
	s_cbranch_execz .LBB72_12
; %bb.11:
	ds_load_2addr_b64 v[10:13], v1 offset1:4
	s_wait_dscnt 0x0
	v_pk_add_f32 v[10:11], v[12:13], v[10:11]
	ds_store_b64 v1, v[10:11]
.LBB72_12:
	s_or_b32 exec_lo, exec_lo, s0
	s_delay_alu instid0(SALU_CYCLE_1)
	s_mov_b32 s1, exec_lo
	s_wait_dscnt 0x0
	s_barrier_signal -1
	s_barrier_wait -1
	v_cmpx_gt_u16_e32 2, v8
	s_cbranch_execz .LBB72_14
; %bb.13:
	ds_load_2addr_b64 v[8:11], v1 offset1:2
	s_wait_dscnt 0x0
	v_pk_add_f32 v[8:9], v[10:11], v[8:9]
	ds_store_b64 v1, v[8:9]
.LBB72_14:
	s_or_b32 exec_lo, exec_lo, s1
	s_wait_dscnt 0x0
	s_barrier_signal -1
	s_barrier_wait -1
	s_and_saveexec_b32 s0, vcc_lo
	s_cbranch_execz .LBB72_16
; %bb.15:
	ds_load_2addr_b64 v[8:11], v1 offset1:1
	s_wait_dscnt 0x0
	v_pk_add_f32 v[8:9], v[10:11], v[8:9]
	ds_store_b64 v1, v[8:9]
.LBB72_16:
	s_or_b32 exec_lo, exec_lo, s0
	v_mov_b64_e32 v[8:9], v[6:7]
	s_mov_b32 s0, exec_lo
	s_wait_dscnt 0x0
	s_barrier_signal -1
	s_barrier_wait -1
	v_cmpx_gt_u32_e32 13, v0
; %bb.17:
	v_lshl_add_u32 v8, v0, 5, v1
	ds_load_b64 v[8:9], v8
; %bb.18:
	s_or_b32 exec_lo, exec_lo, s0
	v_cmp_gt_u32_e64 s0, 13, v0
	s_branch .LBB72_29
.LBB72_19:
                                        ; implicit-def: $vgpr8_vgpr9
	v_cmp_gt_u32_e64 s0, 13, v0
	s_cbranch_execz .LBB72_29
; %bb.20:
	v_cmp_lt_u32_e32 vcc_lo, 12, v0
	s_and_saveexec_b32 s1, s0
	s_cbranch_execz .LBB72_22
; %bb.21:
	s_wait_dscnt 0x0
	ds_load_2addr_b64 v[8:11], v1 offset1:52
	s_wait_dscnt 0x0
	v_pk_add_f32 v[8:9], v[10:11], v[8:9]
	ds_store_b64 v1, v[8:9]
.LBB72_22:
	s_or_b32 exec_lo, exec_lo, s1
	s_delay_alu instid0(SALU_CYCLE_1)
	s_mov_b32 s1, exec_lo
	s_wait_dscnt 0x0
	s_barrier_signal -1
	s_barrier_wait -1
	v_cmpx_gt_u32_e32 26, v0
	s_cbranch_execz .LBB72_24
; %bb.23:
	ds_load_2addr_b64 v[8:11], v1 offset1:26
	s_wait_dscnt 0x0
	v_pk_add_f32 v[8:9], v[10:11], v[8:9]
	ds_store_b64 v1, v[8:9]
.LBB72_24:
	s_or_b32 exec_lo, exec_lo, s1
	s_wait_dscnt 0x0
	s_and_saveexec_b32 s0, vcc_lo
	s_delay_alu instid0(SALU_CYCLE_1)
	s_xor_b32 s0, exec_lo, s0
; %bb.25:
                                        ; implicit-def: $vgpr1
; %bb.26:
	s_delay_alu instid0(SALU_CYCLE_1)
	s_and_not1_saveexec_b32 s0, s0
	s_cbranch_execz .LBB72_28
; %bb.27:
	ds_load_2addr_b64 v[6:9], v1 offset1:13
	s_wait_dscnt 0x0
	v_pk_add_f32 v[6:7], v[8:9], v[6:7]
	ds_store_b64 v1, v[6:7]
	s_wait_dscnt 0x0
	ds_load_b64 v[6:7], v1
.LBB72_28:
	s_or_b32 exec_lo, exec_lo, s0
	s_wait_dscnt 0x0
	v_mov_b64_e32 v[8:9], v[6:7]
.LBB72_29:
	v_cmp_gt_u32_e32 vcc_lo, 13, v0
	s_and_b32 exec_lo, exec_lo, vcc_lo
	s_cbranch_execz .LBB72_34
; %bb.30:
	v_mad_u32 v6, s8, 13, v0
	v_cmp_eq_f32_e32 vcc_lo, 0, v4
	v_cmp_eq_f32_e64 s0, 0, v5
	v_xor_b32_e32 v0, 0x80000000, v3
	s_and_b32 s0, vcc_lo, s0
	s_delay_alu instid0(SALU_CYCLE_1) | instskip(NEXT) | instid1(SALU_CYCLE_1)
	s_and_saveexec_b32 s1, s0
	s_xor_b32 s0, exec_lo, s1
	s_cbranch_execz .LBB72_32
; %bb.31:
	v_mov_b32_e32 v1, v2
                                        ; implicit-def: $vgpr4_vgpr5
	s_wait_dscnt 0x0
	s_delay_alu instid0(VALU_DEP_1) | instskip(NEXT) | instid1(VALU_DEP_1)
	v_pk_mul_f32 v[0:1], v[8:9], v[0:1] op_sel:[1,0]
	v_pk_fma_f32 v[0:1], v[2:3], v[8:9], v[0:1] op_sel_hi:[1,0,1]
                                        ; implicit-def: $vgpr2_vgpr3
                                        ; implicit-def: $vgpr8_vgpr9
	global_store_b64 v6, v[0:1], s[2:3] scale_offset
                                        ; implicit-def: $vgpr6
                                        ; implicit-def: $vgpr0
.LBB72_32:
	s_wait_xcnt 0x0
	s_and_not1_saveexec_b32 s0, s0
	s_cbranch_execz .LBB72_34
; %bb.33:
	global_load_b64 v[10:11], v6, s[2:3] scale_offset
	v_mov_b32_e32 v1, v2
	s_wait_dscnt 0x0
	s_delay_alu instid0(VALU_DEP_1) | instskip(NEXT) | instid1(VALU_DEP_1)
	v_pk_mul_f32 v[0:1], v[8:9], v[0:1] op_sel:[1,0]
	v_pk_fma_f32 v[0:1], v[2:3], v[8:9], v[0:1] op_sel_hi:[1,0,1]
	v_xor_b32_e32 v2, 0x80000000, v5
	v_mov_b32_e32 v3, v4
	s_wait_loadcnt 0x0
	s_delay_alu instid0(VALU_DEP_3) | instskip(NEXT) | instid1(VALU_DEP_1)
	v_pk_fma_f32 v[0:1], v[4:5], v[10:11], v[0:1] op_sel_hi:[1,0,1]
	v_pk_fma_f32 v[0:1], v[2:3], v[10:11], v[0:1] op_sel:[0,1,0]
	global_store_b64 v6, v[0:1], s[2:3] scale_offset
.LBB72_34:
	s_endpgm
	.section	.rodata,"a",@progbits
	.p2align	6, 0x0
	.amdhsa_kernel _ZN9rocsparseL22gebsrmvn_mxn_16_kernelILj65ELj13ELj5E21rocsparse_complex_numIfEEEvi20rocsparse_direction_NS_24const_host_device_scalarIT2_EEPKiS8_PKS5_iiSA_S6_PS5_21rocsparse_index_base_b
		.amdhsa_group_segment_fixed_size 520
		.amdhsa_private_segment_fixed_size 0
		.amdhsa_kernarg_size 80
		.amdhsa_user_sgpr_count 2
		.amdhsa_user_sgpr_dispatch_ptr 0
		.amdhsa_user_sgpr_queue_ptr 0
		.amdhsa_user_sgpr_kernarg_segment_ptr 1
		.amdhsa_user_sgpr_dispatch_id 0
		.amdhsa_user_sgpr_kernarg_preload_length 0
		.amdhsa_user_sgpr_kernarg_preload_offset 0
		.amdhsa_user_sgpr_private_segment_size 0
		.amdhsa_wavefront_size32 1
		.amdhsa_uses_dynamic_stack 0
		.amdhsa_enable_private_segment 0
		.amdhsa_system_sgpr_workgroup_id_x 1
		.amdhsa_system_sgpr_workgroup_id_y 0
		.amdhsa_system_sgpr_workgroup_id_z 0
		.amdhsa_system_sgpr_workgroup_info 0
		.amdhsa_system_vgpr_workitem_id 0
		.amdhsa_next_free_vgpr 16
		.amdhsa_next_free_sgpr 16
		.amdhsa_named_barrier_count 0
		.amdhsa_reserve_vcc 1
		.amdhsa_float_round_mode_32 0
		.amdhsa_float_round_mode_16_64 0
		.amdhsa_float_denorm_mode_32 3
		.amdhsa_float_denorm_mode_16_64 3
		.amdhsa_fp16_overflow 0
		.amdhsa_memory_ordered 1
		.amdhsa_forward_progress 1
		.amdhsa_inst_pref_size 10
		.amdhsa_round_robin_scheduling 0
		.amdhsa_exception_fp_ieee_invalid_op 0
		.amdhsa_exception_fp_denorm_src 0
		.amdhsa_exception_fp_ieee_div_zero 0
		.amdhsa_exception_fp_ieee_overflow 0
		.amdhsa_exception_fp_ieee_underflow 0
		.amdhsa_exception_fp_ieee_inexact 0
		.amdhsa_exception_int_div_zero 0
	.end_amdhsa_kernel
	.section	.text._ZN9rocsparseL22gebsrmvn_mxn_16_kernelILj65ELj13ELj5E21rocsparse_complex_numIfEEEvi20rocsparse_direction_NS_24const_host_device_scalarIT2_EEPKiS8_PKS5_iiSA_S6_PS5_21rocsparse_index_base_b,"axG",@progbits,_ZN9rocsparseL22gebsrmvn_mxn_16_kernelILj65ELj13ELj5E21rocsparse_complex_numIfEEEvi20rocsparse_direction_NS_24const_host_device_scalarIT2_EEPKiS8_PKS5_iiSA_S6_PS5_21rocsparse_index_base_b,comdat
.Lfunc_end72:
	.size	_ZN9rocsparseL22gebsrmvn_mxn_16_kernelILj65ELj13ELj5E21rocsparse_complex_numIfEEEvi20rocsparse_direction_NS_24const_host_device_scalarIT2_EEPKiS8_PKS5_iiSA_S6_PS5_21rocsparse_index_base_b, .Lfunc_end72-_ZN9rocsparseL22gebsrmvn_mxn_16_kernelILj65ELj13ELj5E21rocsparse_complex_numIfEEEvi20rocsparse_direction_NS_24const_host_device_scalarIT2_EEPKiS8_PKS5_iiSA_S6_PS5_21rocsparse_index_base_b
                                        ; -- End function
	.set _ZN9rocsparseL22gebsrmvn_mxn_16_kernelILj65ELj13ELj5E21rocsparse_complex_numIfEEEvi20rocsparse_direction_NS_24const_host_device_scalarIT2_EEPKiS8_PKS5_iiSA_S6_PS5_21rocsparse_index_base_b.num_vgpr, 16
	.set _ZN9rocsparseL22gebsrmvn_mxn_16_kernelILj65ELj13ELj5E21rocsparse_complex_numIfEEEvi20rocsparse_direction_NS_24const_host_device_scalarIT2_EEPKiS8_PKS5_iiSA_S6_PS5_21rocsparse_index_base_b.num_agpr, 0
	.set _ZN9rocsparseL22gebsrmvn_mxn_16_kernelILj65ELj13ELj5E21rocsparse_complex_numIfEEEvi20rocsparse_direction_NS_24const_host_device_scalarIT2_EEPKiS8_PKS5_iiSA_S6_PS5_21rocsparse_index_base_b.numbered_sgpr, 16
	.set _ZN9rocsparseL22gebsrmvn_mxn_16_kernelILj65ELj13ELj5E21rocsparse_complex_numIfEEEvi20rocsparse_direction_NS_24const_host_device_scalarIT2_EEPKiS8_PKS5_iiSA_S6_PS5_21rocsparse_index_base_b.num_named_barrier, 0
	.set _ZN9rocsparseL22gebsrmvn_mxn_16_kernelILj65ELj13ELj5E21rocsparse_complex_numIfEEEvi20rocsparse_direction_NS_24const_host_device_scalarIT2_EEPKiS8_PKS5_iiSA_S6_PS5_21rocsparse_index_base_b.private_seg_size, 0
	.set _ZN9rocsparseL22gebsrmvn_mxn_16_kernelILj65ELj13ELj5E21rocsparse_complex_numIfEEEvi20rocsparse_direction_NS_24const_host_device_scalarIT2_EEPKiS8_PKS5_iiSA_S6_PS5_21rocsparse_index_base_b.uses_vcc, 1
	.set _ZN9rocsparseL22gebsrmvn_mxn_16_kernelILj65ELj13ELj5E21rocsparse_complex_numIfEEEvi20rocsparse_direction_NS_24const_host_device_scalarIT2_EEPKiS8_PKS5_iiSA_S6_PS5_21rocsparse_index_base_b.uses_flat_scratch, 1
	.set _ZN9rocsparseL22gebsrmvn_mxn_16_kernelILj65ELj13ELj5E21rocsparse_complex_numIfEEEvi20rocsparse_direction_NS_24const_host_device_scalarIT2_EEPKiS8_PKS5_iiSA_S6_PS5_21rocsparse_index_base_b.has_dyn_sized_stack, 0
	.set _ZN9rocsparseL22gebsrmvn_mxn_16_kernelILj65ELj13ELj5E21rocsparse_complex_numIfEEEvi20rocsparse_direction_NS_24const_host_device_scalarIT2_EEPKiS8_PKS5_iiSA_S6_PS5_21rocsparse_index_base_b.has_recursion, 0
	.set _ZN9rocsparseL22gebsrmvn_mxn_16_kernelILj65ELj13ELj5E21rocsparse_complex_numIfEEEvi20rocsparse_direction_NS_24const_host_device_scalarIT2_EEPKiS8_PKS5_iiSA_S6_PS5_21rocsparse_index_base_b.has_indirect_call, 0
	.section	.AMDGPU.csdata,"",@progbits
; Kernel info:
; codeLenInByte = 1272
; TotalNumSgprs: 18
; NumVgprs: 16
; ScratchSize: 0
; MemoryBound: 0
; FloatMode: 240
; IeeeMode: 1
; LDSByteSize: 520 bytes/workgroup (compile time only)
; SGPRBlocks: 0
; VGPRBlocks: 0
; NumSGPRsForWavesPerEU: 18
; NumVGPRsForWavesPerEU: 16
; NamedBarCnt: 0
; Occupancy: 16
; WaveLimiterHint : 1
; COMPUTE_PGM_RSRC2:SCRATCH_EN: 0
; COMPUTE_PGM_RSRC2:USER_SGPR: 2
; COMPUTE_PGM_RSRC2:TRAP_HANDLER: 0
; COMPUTE_PGM_RSRC2:TGID_X_EN: 1
; COMPUTE_PGM_RSRC2:TGID_Y_EN: 0
; COMPUTE_PGM_RSRC2:TGID_Z_EN: 0
; COMPUTE_PGM_RSRC2:TIDIG_COMP_CNT: 0
	.section	.text._ZN9rocsparseL22gebsrmvn_mxn_16_kernelILj78ELj13ELj6E21rocsparse_complex_numIfEEEvi20rocsparse_direction_NS_24const_host_device_scalarIT2_EEPKiS8_PKS5_iiSA_S6_PS5_21rocsparse_index_base_b,"axG",@progbits,_ZN9rocsparseL22gebsrmvn_mxn_16_kernelILj78ELj13ELj6E21rocsparse_complex_numIfEEEvi20rocsparse_direction_NS_24const_host_device_scalarIT2_EEPKiS8_PKS5_iiSA_S6_PS5_21rocsparse_index_base_b,comdat
	.globl	_ZN9rocsparseL22gebsrmvn_mxn_16_kernelILj78ELj13ELj6E21rocsparse_complex_numIfEEEvi20rocsparse_direction_NS_24const_host_device_scalarIT2_EEPKiS8_PKS5_iiSA_S6_PS5_21rocsparse_index_base_b ; -- Begin function _ZN9rocsparseL22gebsrmvn_mxn_16_kernelILj78ELj13ELj6E21rocsparse_complex_numIfEEEvi20rocsparse_direction_NS_24const_host_device_scalarIT2_EEPKiS8_PKS5_iiSA_S6_PS5_21rocsparse_index_base_b
	.p2align	8
	.type	_ZN9rocsparseL22gebsrmvn_mxn_16_kernelILj78ELj13ELj6E21rocsparse_complex_numIfEEEvi20rocsparse_direction_NS_24const_host_device_scalarIT2_EEPKiS8_PKS5_iiSA_S6_PS5_21rocsparse_index_base_b,@function
_ZN9rocsparseL22gebsrmvn_mxn_16_kernelILj78ELj13ELj6E21rocsparse_complex_numIfEEEvi20rocsparse_direction_NS_24const_host_device_scalarIT2_EEPKiS8_PKS5_iiSA_S6_PS5_21rocsparse_index_base_b: ; @_ZN9rocsparseL22gebsrmvn_mxn_16_kernelILj78ELj13ELj6E21rocsparse_complex_numIfEEEvi20rocsparse_direction_NS_24const_host_device_scalarIT2_EEPKiS8_PKS5_iiSA_S6_PS5_21rocsparse_index_base_b
; %bb.0:
	s_clause 0x2
	s_load_b64 s[10:11], s[0:1], 0x48
	s_load_b64 s[2:3], s[0:1], 0x8
	;; [unrolled: 1-line block ×3, first 2 shown]
	v_mov_b32_e32 v1, 0
	s_add_nc_u64 s[6:7], s[0:1], 8
	s_add_nc_u64 s[8:9], s[0:1], 56
	s_wait_kmcnt 0x0
	s_bitcmp1_b32 s11, 0
	s_cselect_b32 s3, s7, s3
	s_cselect_b32 s2, s6, s2
	;; [unrolled: 1-line block ×4, first 2 shown]
	s_clause 0x1
	flat_load_b64 v[2:3], v1, s[2:3]
	flat_load_b64 v[4:5], v1, s[4:5]
	s_wait_loadcnt_dscnt 0x101
	v_cmp_eq_f32_e32 vcc_lo, 0, v2
	v_cmp_eq_f32_e64 s2, 0, v3
	s_wait_loadcnt_dscnt 0x0
	v_cmp_eq_f32_e64 s3, 1.0, v4
	v_cmp_eq_f32_e64 s4, 0, v5
	s_and_b32 s2, vcc_lo, s2
	s_and_b32 s3, s3, s4
	s_delay_alu instid0(SALU_CYCLE_1) | instskip(NEXT) | instid1(SALU_CYCLE_1)
	s_and_b32 s2, s2, s3
	s_xor_b32 s2, s2, -1
	s_delay_alu instid0(SALU_CYCLE_1)
	s_and_saveexec_b32 s3, s2
	s_cbranch_execz .LBB73_34
; %bb.1:
	v_mul_u32_u24_e32 v1, 0x2aab, v0
	s_clause 0x1
	s_load_b32 s4, s[0:1], 0x4
	s_load_b64 s[2:3], s[0:1], 0x10
	v_and_b32_e32 v6, 0xffff, v0
	v_lshrrev_b32_e32 v1, 16, v1
	s_delay_alu instid0(VALU_DEP_1) | instskip(NEXT) | instid1(VALU_DEP_1)
	v_mul_lo_u16 v1, v1, 6
	v_sub_nc_u16 v1, v0, v1
	s_delay_alu instid0(VALU_DEP_1) | instskip(SKIP_3) | instid1(SALU_CYCLE_1)
	v_and_b32_e32 v8, 0xffff, v1
	s_wait_kmcnt 0x0
	s_cmp_lg_u32 s4, 1
	s_cselect_b32 s11, -1, 0
	s_and_b32 vcc_lo, exec_lo, s11
	v_mov_b32_e32 v1, v8
	s_cbranch_vccnz .LBB73_3
; %bb.2:
	v_mul_u32_u24_e32 v1, 0x13b2, v6
	s_delay_alu instid0(VALU_DEP_1) | instskip(NEXT) | instid1(VALU_DEP_1)
	v_lshrrev_b32_e32 v1, 16, v1
	v_mul_lo_u16 v7, v1, 43
	s_delay_alu instid0(VALU_DEP_1) | instskip(NEXT) | instid1(VALU_DEP_1)
	v_lshrrev_b16 v7, 8, v7
	v_mul_lo_u16 v7, v7, 6
	s_delay_alu instid0(VALU_DEP_1) | instskip(NEXT) | instid1(VALU_DEP_1)
	v_sub_nc_u16 v1, v1, v7
	v_and_b32_e32 v1, 0xff, v1
.LBB73_3:
	s_bfe_u32 s4, ttmp6, 0x4000c
	s_and_b32 s5, ttmp6, 15
	s_add_co_i32 s4, s4, 1
	s_getreg_b32 s6, hwreg(HW_REG_IB_STS2, 6, 4)
	s_mul_i32 s4, ttmp9, s4
	s_delay_alu instid0(SALU_CYCLE_1) | instskip(SKIP_2) | instid1(SALU_CYCLE_1)
	s_add_co_i32 s5, s5, s4
	s_cmp_eq_u32 s6, 0
	s_cselect_b32 s8, ttmp9, s5
	s_ashr_i32 s9, s8, 31
	s_delay_alu instid0(SALU_CYCLE_1) | instskip(NEXT) | instid1(SALU_CYCLE_1)
	s_lshl_b64 s[4:5], s[8:9], 2
	s_add_nc_u64 s[4:5], s[2:3], s[4:5]
	s_load_b64 s[14:15], s[4:5], 0x0
	s_load_b64 s[2:3], s[0:1], 0x40
	s_wait_kmcnt 0x0
	s_cmp_ge_i32 s14, s15
	s_cbranch_scc1 .LBB73_8
; %bb.4:
	s_clause 0x1
	s_load_b128 s[4:7], s[0:1], 0x18
	s_load_b64 s[12:13], s[0:1], 0x30
	v_mad_u32 v10, 0x4e, s14, v0
	v_mul_u32_u24_e32 v9, 0x349, v6
	s_wait_xcnt 0x0
	s_mul_i32 s0, s10, 0x4e
	v_mov_b64_e32 v[6:7], 0
	s_sub_co_i32 s1, s14, s10
	v_lshrrev_b32_e32 v9, 16, v9
	s_delay_alu instid0(VALU_DEP_4)
	v_subrev_nc_u32_e32 v10, s0, v10
	s_sub_co_i32 s0, s15, s10
	s_branch .LBB73_6
.LBB73_5:                               ;   in Loop: Header=BB73_6 Depth=1
	s_or_b32 exec_lo, exec_lo, s9
	v_add_nc_u32_e32 v10, 0x4e, v10
	s_add_co_i32 s1, s1, 1
	s_delay_alu instid0(SALU_CYCLE_1)
	s_cmp_ge_i32 s1, s0
	s_cbranch_scc1 .LBB73_9
.LBB73_6:                               ; =>This Inner Loop Header: Depth=1
	s_delay_alu instid0(VALU_DEP_2) | instskip(SKIP_1) | instid1(VALU_DEP_1)
	v_add_nc_u32_e32 v11, s1, v9
	s_mov_b32 s9, exec_lo
	v_cmpx_gt_i32_e64 s0, v11
	s_cbranch_execz .LBB73_5
; %bb.7:                                ;   in Loop: Header=BB73_6 Depth=1
	s_wait_kmcnt 0x0
	global_load_b32 v11, v11, s[4:5] scale_offset
	s_wait_loadcnt 0x0
	v_subrev_nc_u32_e32 v11, s10, v11
	s_delay_alu instid0(VALU_DEP_1) | instskip(SKIP_4) | instid1(VALU_DEP_1)
	v_mad_u32 v11, v11, 6, v1
	global_load_b64 v[12:13], v11, s[12:13] scale_offset
	global_load_b64 v[14:15], v10, s[6:7] scale_offset
	s_wait_loadcnt 0x0
	v_pk_fma_f32 v[6:7], v[14:15], v[12:13], v[6:7] op_sel_hi:[1,0,1]
	v_pk_fma_f32 v[6:7], v[14:15], v[12:13], v[6:7] op_sel:[1,1,0] op_sel_hi:[0,1,1] neg_lo:[1,0,0]
	s_branch .LBB73_5
.LBB73_8:
	v_mov_b64_e32 v[6:7], 0
.LBB73_9:
	v_lshlrev_b32_e32 v1, 3, v0
	s_and_b32 vcc_lo, exec_lo, s11
	ds_store_b64 v1, v[6:7]
	s_wait_dscnt 0x0
	s_barrier_signal -1
	s_barrier_wait -1
	s_cbranch_vccz .LBB73_19
; %bb.10:
	v_cmp_gt_u16_e32 vcc_lo, 2, v8
	s_and_saveexec_b32 s0, vcc_lo
	s_cbranch_execz .LBB73_12
; %bb.11:
	ds_load_2addr_b64 v[10:13], v1 offset1:4
	s_wait_dscnt 0x0
	v_pk_add_f32 v[10:11], v[12:13], v[10:11]
	ds_store_b64 v1, v[10:11]
.LBB73_12:
	s_or_b32 exec_lo, exec_lo, s0
	s_wait_dscnt 0x0
	s_barrier_signal -1
	s_barrier_wait -1
	s_and_saveexec_b32 s0, vcc_lo
	s_cbranch_execz .LBB73_14
; %bb.13:
	ds_load_2addr_b64 v[10:13], v1 offset1:2
	s_wait_dscnt 0x0
	v_pk_add_f32 v[10:11], v[12:13], v[10:11]
	ds_store_b64 v1, v[10:11]
.LBB73_14:
	s_or_b32 exec_lo, exec_lo, s0
	s_delay_alu instid0(SALU_CYCLE_1)
	s_mov_b32 s0, exec_lo
	s_wait_dscnt 0x0
	s_barrier_signal -1
	s_barrier_wait -1
	v_cmpx_eq_u16_e32 0, v8
	s_cbranch_execz .LBB73_16
; %bb.15:
	ds_load_2addr_b64 v[8:11], v1 offset1:1
	s_wait_dscnt 0x0
	v_pk_add_f32 v[8:9], v[10:11], v[8:9]
	ds_store_b64 v1, v[8:9]
.LBB73_16:
	s_or_b32 exec_lo, exec_lo, s0
	v_mov_b64_e32 v[8:9], v[6:7]
	s_mov_b32 s0, exec_lo
	s_wait_dscnt 0x0
	s_barrier_signal -1
	s_barrier_wait -1
	v_cmpx_gt_u32_e32 13, v0
; %bb.17:
	v_mad_u32_u24 v8, v0, 40, v1
	ds_load_b64 v[8:9], v8
; %bb.18:
	s_or_b32 exec_lo, exec_lo, s0
	s_branch .LBB73_29
.LBB73_19:
                                        ; implicit-def: $vgpr8_vgpr9
	s_cbranch_execz .LBB73_29
; %bb.20:
	v_cmp_gt_u32_e32 vcc_lo, 26, v0
	s_and_saveexec_b32 s0, vcc_lo
	s_cbranch_execz .LBB73_22
; %bb.21:
	s_wait_dscnt 0x0
	ds_load_2addr_b64 v[8:11], v1 offset1:52
	s_wait_dscnt 0x0
	v_pk_add_f32 v[8:9], v[10:11], v[8:9]
	ds_store_b64 v1, v[8:9]
.LBB73_22:
	s_or_b32 exec_lo, exec_lo, s0
	s_wait_dscnt 0x0
	s_barrier_signal -1
	s_barrier_wait -1
	s_and_saveexec_b32 s0, vcc_lo
	s_cbranch_execz .LBB73_24
; %bb.23:
	ds_load_2addr_b64 v[8:11], v1 offset1:26
	s_wait_dscnt 0x0
	v_pk_add_f32 v[8:9], v[10:11], v[8:9]
	ds_store_b64 v1, v[8:9]
.LBB73_24:
	s_or_b32 exec_lo, exec_lo, s0
	s_delay_alu instid0(SALU_CYCLE_1)
	s_mov_b32 s0, exec_lo
	s_wait_dscnt 0x0
	v_cmpx_lt_u32_e32 12, v0
	s_xor_b32 s0, exec_lo, s0
; %bb.25:
                                        ; implicit-def: $vgpr1
; %bb.26:
	s_delay_alu instid0(SALU_CYCLE_1)
	s_and_not1_saveexec_b32 s0, s0
	s_cbranch_execz .LBB73_28
; %bb.27:
	ds_load_2addr_b64 v[6:9], v1 offset1:13
	s_wait_dscnt 0x0
	v_pk_add_f32 v[6:7], v[8:9], v[6:7]
	ds_store_b64 v1, v[6:7]
	s_wait_dscnt 0x0
	ds_load_b64 v[6:7], v1
.LBB73_28:
	s_or_b32 exec_lo, exec_lo, s0
	s_wait_dscnt 0x0
	v_mov_b64_e32 v[8:9], v[6:7]
.LBB73_29:
	v_cmp_gt_u32_e32 vcc_lo, 13, v0
	s_and_b32 exec_lo, exec_lo, vcc_lo
	s_cbranch_execz .LBB73_34
; %bb.30:
	v_mad_u32 v6, s8, 13, v0
	v_cmp_eq_f32_e32 vcc_lo, 0, v4
	v_cmp_eq_f32_e64 s0, 0, v5
	v_xor_b32_e32 v0, 0x80000000, v3
	s_and_b32 s0, vcc_lo, s0
	s_delay_alu instid0(SALU_CYCLE_1) | instskip(NEXT) | instid1(SALU_CYCLE_1)
	s_and_saveexec_b32 s1, s0
	s_xor_b32 s0, exec_lo, s1
	s_cbranch_execz .LBB73_32
; %bb.31:
	v_mov_b32_e32 v1, v2
                                        ; implicit-def: $vgpr4_vgpr5
	s_wait_dscnt 0x0
	s_delay_alu instid0(VALU_DEP_1) | instskip(NEXT) | instid1(VALU_DEP_1)
	v_pk_mul_f32 v[0:1], v[8:9], v[0:1] op_sel:[1,0]
	v_pk_fma_f32 v[0:1], v[2:3], v[8:9], v[0:1] op_sel_hi:[1,0,1]
                                        ; implicit-def: $vgpr2_vgpr3
                                        ; implicit-def: $vgpr8_vgpr9
	global_store_b64 v6, v[0:1], s[2:3] scale_offset
                                        ; implicit-def: $vgpr6
                                        ; implicit-def: $vgpr0
.LBB73_32:
	s_wait_xcnt 0x0
	s_and_not1_saveexec_b32 s0, s0
	s_cbranch_execz .LBB73_34
; %bb.33:
	global_load_b64 v[10:11], v6, s[2:3] scale_offset
	v_mov_b32_e32 v1, v2
	s_wait_dscnt 0x0
	s_delay_alu instid0(VALU_DEP_1) | instskip(NEXT) | instid1(VALU_DEP_1)
	v_pk_mul_f32 v[0:1], v[8:9], v[0:1] op_sel:[1,0]
	v_pk_fma_f32 v[0:1], v[2:3], v[8:9], v[0:1] op_sel_hi:[1,0,1]
	v_xor_b32_e32 v2, 0x80000000, v5
	v_mov_b32_e32 v3, v4
	s_wait_loadcnt 0x0
	s_delay_alu instid0(VALU_DEP_3) | instskip(NEXT) | instid1(VALU_DEP_1)
	v_pk_fma_f32 v[0:1], v[4:5], v[10:11], v[0:1] op_sel_hi:[1,0,1]
	v_pk_fma_f32 v[0:1], v[2:3], v[10:11], v[0:1] op_sel:[0,1,0]
	global_store_b64 v6, v[0:1], s[2:3] scale_offset
.LBB73_34:
	s_endpgm
	.section	.rodata,"a",@progbits
	.p2align	6, 0x0
	.amdhsa_kernel _ZN9rocsparseL22gebsrmvn_mxn_16_kernelILj78ELj13ELj6E21rocsparse_complex_numIfEEEvi20rocsparse_direction_NS_24const_host_device_scalarIT2_EEPKiS8_PKS5_iiSA_S6_PS5_21rocsparse_index_base_b
		.amdhsa_group_segment_fixed_size 624
		.amdhsa_private_segment_fixed_size 0
		.amdhsa_kernarg_size 80
		.amdhsa_user_sgpr_count 2
		.amdhsa_user_sgpr_dispatch_ptr 0
		.amdhsa_user_sgpr_queue_ptr 0
		.amdhsa_user_sgpr_kernarg_segment_ptr 1
		.amdhsa_user_sgpr_dispatch_id 0
		.amdhsa_user_sgpr_kernarg_preload_length 0
		.amdhsa_user_sgpr_kernarg_preload_offset 0
		.amdhsa_user_sgpr_private_segment_size 0
		.amdhsa_wavefront_size32 1
		.amdhsa_uses_dynamic_stack 0
		.amdhsa_enable_private_segment 0
		.amdhsa_system_sgpr_workgroup_id_x 1
		.amdhsa_system_sgpr_workgroup_id_y 0
		.amdhsa_system_sgpr_workgroup_id_z 0
		.amdhsa_system_sgpr_workgroup_info 0
		.amdhsa_system_vgpr_workitem_id 0
		.amdhsa_next_free_vgpr 16
		.amdhsa_next_free_sgpr 16
		.amdhsa_named_barrier_count 0
		.amdhsa_reserve_vcc 1
		.amdhsa_float_round_mode_32 0
		.amdhsa_float_round_mode_16_64 0
		.amdhsa_float_denorm_mode_32 3
		.amdhsa_float_denorm_mode_16_64 3
		.amdhsa_fp16_overflow 0
		.amdhsa_memory_ordered 1
		.amdhsa_forward_progress 1
		.amdhsa_inst_pref_size 10
		.amdhsa_round_robin_scheduling 0
		.amdhsa_exception_fp_ieee_invalid_op 0
		.amdhsa_exception_fp_denorm_src 0
		.amdhsa_exception_fp_ieee_div_zero 0
		.amdhsa_exception_fp_ieee_overflow 0
		.amdhsa_exception_fp_ieee_underflow 0
		.amdhsa_exception_fp_ieee_inexact 0
		.amdhsa_exception_int_div_zero 0
	.end_amdhsa_kernel
	.section	.text._ZN9rocsparseL22gebsrmvn_mxn_16_kernelILj78ELj13ELj6E21rocsparse_complex_numIfEEEvi20rocsparse_direction_NS_24const_host_device_scalarIT2_EEPKiS8_PKS5_iiSA_S6_PS5_21rocsparse_index_base_b,"axG",@progbits,_ZN9rocsparseL22gebsrmvn_mxn_16_kernelILj78ELj13ELj6E21rocsparse_complex_numIfEEEvi20rocsparse_direction_NS_24const_host_device_scalarIT2_EEPKiS8_PKS5_iiSA_S6_PS5_21rocsparse_index_base_b,comdat
.Lfunc_end73:
	.size	_ZN9rocsparseL22gebsrmvn_mxn_16_kernelILj78ELj13ELj6E21rocsparse_complex_numIfEEEvi20rocsparse_direction_NS_24const_host_device_scalarIT2_EEPKiS8_PKS5_iiSA_S6_PS5_21rocsparse_index_base_b, .Lfunc_end73-_ZN9rocsparseL22gebsrmvn_mxn_16_kernelILj78ELj13ELj6E21rocsparse_complex_numIfEEEvi20rocsparse_direction_NS_24const_host_device_scalarIT2_EEPKiS8_PKS5_iiSA_S6_PS5_21rocsparse_index_base_b
                                        ; -- End function
	.set _ZN9rocsparseL22gebsrmvn_mxn_16_kernelILj78ELj13ELj6E21rocsparse_complex_numIfEEEvi20rocsparse_direction_NS_24const_host_device_scalarIT2_EEPKiS8_PKS5_iiSA_S6_PS5_21rocsparse_index_base_b.num_vgpr, 16
	.set _ZN9rocsparseL22gebsrmvn_mxn_16_kernelILj78ELj13ELj6E21rocsparse_complex_numIfEEEvi20rocsparse_direction_NS_24const_host_device_scalarIT2_EEPKiS8_PKS5_iiSA_S6_PS5_21rocsparse_index_base_b.num_agpr, 0
	.set _ZN9rocsparseL22gebsrmvn_mxn_16_kernelILj78ELj13ELj6E21rocsparse_complex_numIfEEEvi20rocsparse_direction_NS_24const_host_device_scalarIT2_EEPKiS8_PKS5_iiSA_S6_PS5_21rocsparse_index_base_b.numbered_sgpr, 16
	.set _ZN9rocsparseL22gebsrmvn_mxn_16_kernelILj78ELj13ELj6E21rocsparse_complex_numIfEEEvi20rocsparse_direction_NS_24const_host_device_scalarIT2_EEPKiS8_PKS5_iiSA_S6_PS5_21rocsparse_index_base_b.num_named_barrier, 0
	.set _ZN9rocsparseL22gebsrmvn_mxn_16_kernelILj78ELj13ELj6E21rocsparse_complex_numIfEEEvi20rocsparse_direction_NS_24const_host_device_scalarIT2_EEPKiS8_PKS5_iiSA_S6_PS5_21rocsparse_index_base_b.private_seg_size, 0
	.set _ZN9rocsparseL22gebsrmvn_mxn_16_kernelILj78ELj13ELj6E21rocsparse_complex_numIfEEEvi20rocsparse_direction_NS_24const_host_device_scalarIT2_EEPKiS8_PKS5_iiSA_S6_PS5_21rocsparse_index_base_b.uses_vcc, 1
	.set _ZN9rocsparseL22gebsrmvn_mxn_16_kernelILj78ELj13ELj6E21rocsparse_complex_numIfEEEvi20rocsparse_direction_NS_24const_host_device_scalarIT2_EEPKiS8_PKS5_iiSA_S6_PS5_21rocsparse_index_base_b.uses_flat_scratch, 1
	.set _ZN9rocsparseL22gebsrmvn_mxn_16_kernelILj78ELj13ELj6E21rocsparse_complex_numIfEEEvi20rocsparse_direction_NS_24const_host_device_scalarIT2_EEPKiS8_PKS5_iiSA_S6_PS5_21rocsparse_index_base_b.has_dyn_sized_stack, 0
	.set _ZN9rocsparseL22gebsrmvn_mxn_16_kernelILj78ELj13ELj6E21rocsparse_complex_numIfEEEvi20rocsparse_direction_NS_24const_host_device_scalarIT2_EEPKiS8_PKS5_iiSA_S6_PS5_21rocsparse_index_base_b.has_recursion, 0
	.set _ZN9rocsparseL22gebsrmvn_mxn_16_kernelILj78ELj13ELj6E21rocsparse_complex_numIfEEEvi20rocsparse_direction_NS_24const_host_device_scalarIT2_EEPKiS8_PKS5_iiSA_S6_PS5_21rocsparse_index_base_b.has_indirect_call, 0
	.section	.AMDGPU.csdata,"",@progbits
; Kernel info:
; codeLenInByte = 1252
; TotalNumSgprs: 18
; NumVgprs: 16
; ScratchSize: 0
; MemoryBound: 0
; FloatMode: 240
; IeeeMode: 1
; LDSByteSize: 624 bytes/workgroup (compile time only)
; SGPRBlocks: 0
; VGPRBlocks: 0
; NumSGPRsForWavesPerEU: 18
; NumVGPRsForWavesPerEU: 16
; NamedBarCnt: 0
; Occupancy: 16
; WaveLimiterHint : 1
; COMPUTE_PGM_RSRC2:SCRATCH_EN: 0
; COMPUTE_PGM_RSRC2:USER_SGPR: 2
; COMPUTE_PGM_RSRC2:TRAP_HANDLER: 0
; COMPUTE_PGM_RSRC2:TGID_X_EN: 1
; COMPUTE_PGM_RSRC2:TGID_Y_EN: 0
; COMPUTE_PGM_RSRC2:TGID_Z_EN: 0
; COMPUTE_PGM_RSRC2:TIDIG_COMP_CNT: 0
	.section	.text._ZN9rocsparseL22gebsrmvn_mxn_16_kernelILj91ELj13ELj7E21rocsparse_complex_numIfEEEvi20rocsparse_direction_NS_24const_host_device_scalarIT2_EEPKiS8_PKS5_iiSA_S6_PS5_21rocsparse_index_base_b,"axG",@progbits,_ZN9rocsparseL22gebsrmvn_mxn_16_kernelILj91ELj13ELj7E21rocsparse_complex_numIfEEEvi20rocsparse_direction_NS_24const_host_device_scalarIT2_EEPKiS8_PKS5_iiSA_S6_PS5_21rocsparse_index_base_b,comdat
	.globl	_ZN9rocsparseL22gebsrmvn_mxn_16_kernelILj91ELj13ELj7E21rocsparse_complex_numIfEEEvi20rocsparse_direction_NS_24const_host_device_scalarIT2_EEPKiS8_PKS5_iiSA_S6_PS5_21rocsparse_index_base_b ; -- Begin function _ZN9rocsparseL22gebsrmvn_mxn_16_kernelILj91ELj13ELj7E21rocsparse_complex_numIfEEEvi20rocsparse_direction_NS_24const_host_device_scalarIT2_EEPKiS8_PKS5_iiSA_S6_PS5_21rocsparse_index_base_b
	.p2align	8
	.type	_ZN9rocsparseL22gebsrmvn_mxn_16_kernelILj91ELj13ELj7E21rocsparse_complex_numIfEEEvi20rocsparse_direction_NS_24const_host_device_scalarIT2_EEPKiS8_PKS5_iiSA_S6_PS5_21rocsparse_index_base_b,@function
_ZN9rocsparseL22gebsrmvn_mxn_16_kernelILj91ELj13ELj7E21rocsparse_complex_numIfEEEvi20rocsparse_direction_NS_24const_host_device_scalarIT2_EEPKiS8_PKS5_iiSA_S6_PS5_21rocsparse_index_base_b: ; @_ZN9rocsparseL22gebsrmvn_mxn_16_kernelILj91ELj13ELj7E21rocsparse_complex_numIfEEEvi20rocsparse_direction_NS_24const_host_device_scalarIT2_EEPKiS8_PKS5_iiSA_S6_PS5_21rocsparse_index_base_b
; %bb.0:
	s_clause 0x2
	s_load_b64 s[10:11], s[0:1], 0x48
	s_load_b64 s[2:3], s[0:1], 0x8
	;; [unrolled: 1-line block ×3, first 2 shown]
	v_mov_b32_e32 v1, 0
	s_add_nc_u64 s[6:7], s[0:1], 8
	s_add_nc_u64 s[8:9], s[0:1], 56
	s_wait_kmcnt 0x0
	s_bitcmp1_b32 s11, 0
	s_cselect_b32 s3, s7, s3
	s_cselect_b32 s2, s6, s2
	;; [unrolled: 1-line block ×4, first 2 shown]
	s_clause 0x1
	flat_load_b64 v[2:3], v1, s[2:3]
	flat_load_b64 v[4:5], v1, s[4:5]
	s_wait_loadcnt_dscnt 0x101
	v_cmp_eq_f32_e32 vcc_lo, 0, v2
	v_cmp_eq_f32_e64 s2, 0, v3
	s_wait_loadcnt_dscnt 0x0
	v_cmp_eq_f32_e64 s3, 1.0, v4
	v_cmp_eq_f32_e64 s4, 0, v5
	s_and_b32 s2, vcc_lo, s2
	s_and_b32 s3, s3, s4
	s_delay_alu instid0(SALU_CYCLE_1) | instskip(NEXT) | instid1(SALU_CYCLE_1)
	s_and_b32 s2, s2, s3
	s_xor_b32 s2, s2, -1
	s_delay_alu instid0(SALU_CYCLE_1)
	s_and_saveexec_b32 s3, s2
	s_cbranch_execz .LBB74_34
; %bb.1:
	v_mul_u32_u24_e32 v1, 0x2493, v0
	s_clause 0x1
	s_load_b32 s4, s[0:1], 0x4
	s_load_b64 s[2:3], s[0:1], 0x10
	v_and_b32_e32 v6, 0xffff, v0
	v_lshrrev_b32_e32 v1, 16, v1
	s_delay_alu instid0(VALU_DEP_1) | instskip(NEXT) | instid1(VALU_DEP_1)
	v_mul_lo_u16 v1, v1, 7
	v_sub_nc_u16 v1, v0, v1
	s_delay_alu instid0(VALU_DEP_1) | instskip(SKIP_3) | instid1(SALU_CYCLE_1)
	v_and_b32_e32 v8, 0xffff, v1
	s_wait_kmcnt 0x0
	s_cmp_lg_u32 s4, 1
	s_cselect_b32 s11, -1, 0
	s_and_b32 vcc_lo, exec_lo, s11
	v_mov_b32_e32 v1, v8
	s_cbranch_vccnz .LBB74_3
; %bb.2:
	v_mul_u32_u24_e32 v1, 0x13b2, v6
	s_delay_alu instid0(VALU_DEP_1) | instskip(NEXT) | instid1(VALU_DEP_1)
	v_lshrrev_b32_e32 v1, 16, v1
	v_mul_lo_u16 v7, v1, 37
	s_delay_alu instid0(VALU_DEP_1) | instskip(NEXT) | instid1(VALU_DEP_1)
	v_lshrrev_b16 v7, 8, v7
	v_mul_lo_u16 v7, v7, 7
	s_delay_alu instid0(VALU_DEP_1) | instskip(NEXT) | instid1(VALU_DEP_1)
	v_sub_nc_u16 v1, v1, v7
	v_and_b32_e32 v1, 0xff, v1
.LBB74_3:
	s_bfe_u32 s4, ttmp6, 0x4000c
	s_and_b32 s5, ttmp6, 15
	s_add_co_i32 s4, s4, 1
	s_getreg_b32 s6, hwreg(HW_REG_IB_STS2, 6, 4)
	s_mul_i32 s4, ttmp9, s4
	s_delay_alu instid0(SALU_CYCLE_1) | instskip(SKIP_2) | instid1(SALU_CYCLE_1)
	s_add_co_i32 s5, s5, s4
	s_cmp_eq_u32 s6, 0
	s_cselect_b32 s8, ttmp9, s5
	s_ashr_i32 s9, s8, 31
	s_delay_alu instid0(SALU_CYCLE_1) | instskip(NEXT) | instid1(SALU_CYCLE_1)
	s_lshl_b64 s[4:5], s[8:9], 2
	s_add_nc_u64 s[4:5], s[2:3], s[4:5]
	s_load_b64 s[14:15], s[4:5], 0x0
	s_load_b64 s[2:3], s[0:1], 0x40
	s_wait_kmcnt 0x0
	s_cmp_ge_i32 s14, s15
	s_cbranch_scc1 .LBB74_8
; %bb.4:
	s_clause 0x1
	s_load_b128 s[4:7], s[0:1], 0x18
	s_load_b64 s[12:13], s[0:1], 0x30
	v_mad_u32 v10, 0x5b, s14, v0
	v_mul_u32_u24_e32 v9, 0x2d1, v6
	s_wait_xcnt 0x0
	s_mul_i32 s0, s10, 0x5b
	v_mov_b64_e32 v[6:7], 0
	s_sub_co_i32 s1, s14, s10
	v_lshrrev_b32_e32 v9, 16, v9
	s_delay_alu instid0(VALU_DEP_4)
	v_subrev_nc_u32_e32 v10, s0, v10
	s_sub_co_i32 s0, s15, s10
	s_branch .LBB74_6
.LBB74_5:                               ;   in Loop: Header=BB74_6 Depth=1
	s_or_b32 exec_lo, exec_lo, s9
	v_add_nc_u32_e32 v10, 0x5b, v10
	s_add_co_i32 s1, s1, 1
	s_delay_alu instid0(SALU_CYCLE_1)
	s_cmp_ge_i32 s1, s0
	s_cbranch_scc1 .LBB74_9
.LBB74_6:                               ; =>This Inner Loop Header: Depth=1
	s_delay_alu instid0(VALU_DEP_2) | instskip(SKIP_1) | instid1(VALU_DEP_1)
	v_add_nc_u32_e32 v11, s1, v9
	s_mov_b32 s9, exec_lo
	v_cmpx_gt_i32_e64 s0, v11
	s_cbranch_execz .LBB74_5
; %bb.7:                                ;   in Loop: Header=BB74_6 Depth=1
	s_wait_kmcnt 0x0
	global_load_b32 v11, v11, s[4:5] scale_offset
	s_wait_loadcnt 0x0
	v_subrev_nc_u32_e32 v11, s10, v11
	s_delay_alu instid0(VALU_DEP_1) | instskip(SKIP_4) | instid1(VALU_DEP_1)
	v_mad_u32 v11, v11, 7, v1
	global_load_b64 v[12:13], v11, s[12:13] scale_offset
	global_load_b64 v[14:15], v10, s[6:7] scale_offset
	s_wait_loadcnt 0x0
	v_pk_fma_f32 v[6:7], v[14:15], v[12:13], v[6:7] op_sel_hi:[1,0,1]
	v_pk_fma_f32 v[6:7], v[14:15], v[12:13], v[6:7] op_sel:[1,1,0] op_sel_hi:[0,1,1] neg_lo:[1,0,0]
	s_branch .LBB74_5
.LBB74_8:
	v_mov_b64_e32 v[6:7], 0
.LBB74_9:
	v_lshlrev_b32_e32 v1, 3, v0
	s_and_b32 vcc_lo, exec_lo, s11
	ds_store_b64 v1, v[6:7]
	s_wait_dscnt 0x0
	s_barrier_signal -1
	s_barrier_wait -1
	s_cbranch_vccz .LBB74_19
; %bb.10:
	s_mov_b32 s0, exec_lo
	v_cmpx_gt_u16_e32 3, v8
	s_cbranch_execz .LBB74_12
; %bb.11:
	ds_load_2addr_b64 v[10:13], v1 offset1:4
	s_wait_dscnt 0x0
	v_pk_add_f32 v[10:11], v[12:13], v[10:11]
	ds_store_b64 v1, v[10:11]
.LBB74_12:
	s_or_b32 exec_lo, exec_lo, s0
	s_delay_alu instid0(SALU_CYCLE_1)
	s_mov_b32 s0, exec_lo
	s_wait_dscnt 0x0
	s_barrier_signal -1
	s_barrier_wait -1
	v_cmpx_gt_u16_e32 2, v8
	s_cbranch_execz .LBB74_14
; %bb.13:
	ds_load_2addr_b64 v[10:13], v1 offset1:2
	s_wait_dscnt 0x0
	v_pk_add_f32 v[10:11], v[12:13], v[10:11]
	ds_store_b64 v1, v[10:11]
.LBB74_14:
	s_or_b32 exec_lo, exec_lo, s0
	s_delay_alu instid0(SALU_CYCLE_1)
	s_mov_b32 s0, exec_lo
	s_wait_dscnt 0x0
	s_barrier_signal -1
	s_barrier_wait -1
	v_cmpx_eq_u16_e32 0, v8
	s_cbranch_execz .LBB74_16
; %bb.15:
	ds_load_2addr_b64 v[8:11], v1 offset1:1
	s_wait_dscnt 0x0
	v_pk_add_f32 v[8:9], v[10:11], v[8:9]
	ds_store_b64 v1, v[8:9]
.LBB74_16:
	s_or_b32 exec_lo, exec_lo, s0
	v_mov_b64_e32 v[8:9], v[6:7]
	s_mov_b32 s0, exec_lo
	s_wait_dscnt 0x0
	s_barrier_signal -1
	s_barrier_wait -1
	v_cmpx_gt_u32_e32 13, v0
; %bb.17:
	v_mad_u32_u24 v8, v0, 48, v1
	ds_load_b64 v[8:9], v8
; %bb.18:
	s_or_b32 exec_lo, exec_lo, s0
	s_branch .LBB74_29
.LBB74_19:
                                        ; implicit-def: $vgpr8_vgpr9
	s_cbranch_execz .LBB74_29
; %bb.20:
	s_mov_b32 s0, exec_lo
	v_cmpx_gt_u32_e32 39, v0
	s_cbranch_execz .LBB74_22
; %bb.21:
	s_wait_dscnt 0x0
	ds_load_2addr_b64 v[8:11], v1 offset1:52
	s_wait_dscnt 0x0
	v_pk_add_f32 v[8:9], v[10:11], v[8:9]
	ds_store_b64 v1, v[8:9]
.LBB74_22:
	s_or_b32 exec_lo, exec_lo, s0
	s_delay_alu instid0(SALU_CYCLE_1)
	s_mov_b32 s0, exec_lo
	s_wait_dscnt 0x0
	s_barrier_signal -1
	s_barrier_wait -1
	v_cmpx_gt_u32_e32 26, v0
	s_cbranch_execz .LBB74_24
; %bb.23:
	ds_load_2addr_b64 v[8:11], v1 offset1:26
	s_wait_dscnt 0x0
	v_pk_add_f32 v[8:9], v[10:11], v[8:9]
	ds_store_b64 v1, v[8:9]
.LBB74_24:
	s_or_b32 exec_lo, exec_lo, s0
	s_delay_alu instid0(SALU_CYCLE_1)
	s_mov_b32 s0, exec_lo
	s_wait_dscnt 0x0
	v_cmpx_lt_u32_e32 12, v0
	s_xor_b32 s0, exec_lo, s0
; %bb.25:
                                        ; implicit-def: $vgpr1
; %bb.26:
	s_delay_alu instid0(SALU_CYCLE_1)
	s_and_not1_saveexec_b32 s0, s0
	s_cbranch_execz .LBB74_28
; %bb.27:
	ds_load_2addr_b64 v[6:9], v1 offset1:13
	s_wait_dscnt 0x0
	v_pk_add_f32 v[6:7], v[8:9], v[6:7]
	ds_store_b64 v1, v[6:7]
	s_wait_dscnt 0x0
	ds_load_b64 v[6:7], v1
.LBB74_28:
	s_or_b32 exec_lo, exec_lo, s0
	s_wait_dscnt 0x0
	v_mov_b64_e32 v[8:9], v[6:7]
.LBB74_29:
	v_cmp_gt_u32_e32 vcc_lo, 13, v0
	s_and_b32 exec_lo, exec_lo, vcc_lo
	s_cbranch_execz .LBB74_34
; %bb.30:
	v_mad_u32 v6, s8, 13, v0
	v_cmp_eq_f32_e32 vcc_lo, 0, v4
	v_cmp_eq_f32_e64 s0, 0, v5
	v_xor_b32_e32 v0, 0x80000000, v3
	s_and_b32 s0, vcc_lo, s0
	s_delay_alu instid0(SALU_CYCLE_1) | instskip(NEXT) | instid1(SALU_CYCLE_1)
	s_and_saveexec_b32 s1, s0
	s_xor_b32 s0, exec_lo, s1
	s_cbranch_execz .LBB74_32
; %bb.31:
	v_mov_b32_e32 v1, v2
                                        ; implicit-def: $vgpr4_vgpr5
	s_wait_dscnt 0x0
	s_delay_alu instid0(VALU_DEP_1) | instskip(NEXT) | instid1(VALU_DEP_1)
	v_pk_mul_f32 v[0:1], v[8:9], v[0:1] op_sel:[1,0]
	v_pk_fma_f32 v[0:1], v[2:3], v[8:9], v[0:1] op_sel_hi:[1,0,1]
                                        ; implicit-def: $vgpr2_vgpr3
                                        ; implicit-def: $vgpr8_vgpr9
	global_store_b64 v6, v[0:1], s[2:3] scale_offset
                                        ; implicit-def: $vgpr6
                                        ; implicit-def: $vgpr0
.LBB74_32:
	s_wait_xcnt 0x0
	s_and_not1_saveexec_b32 s0, s0
	s_cbranch_execz .LBB74_34
; %bb.33:
	global_load_b64 v[10:11], v6, s[2:3] scale_offset
	v_mov_b32_e32 v1, v2
	s_wait_dscnt 0x0
	s_delay_alu instid0(VALU_DEP_1) | instskip(NEXT) | instid1(VALU_DEP_1)
	v_pk_mul_f32 v[0:1], v[8:9], v[0:1] op_sel:[1,0]
	v_pk_fma_f32 v[0:1], v[2:3], v[8:9], v[0:1] op_sel_hi:[1,0,1]
	v_xor_b32_e32 v2, 0x80000000, v5
	v_mov_b32_e32 v3, v4
	s_wait_loadcnt 0x0
	s_delay_alu instid0(VALU_DEP_3) | instskip(NEXT) | instid1(VALU_DEP_1)
	v_pk_fma_f32 v[0:1], v[4:5], v[10:11], v[0:1] op_sel_hi:[1,0,1]
	v_pk_fma_f32 v[0:1], v[2:3], v[10:11], v[0:1] op_sel:[0,1,0]
	global_store_b64 v6, v[0:1], s[2:3] scale_offset
.LBB74_34:
	s_endpgm
	.section	.rodata,"a",@progbits
	.p2align	6, 0x0
	.amdhsa_kernel _ZN9rocsparseL22gebsrmvn_mxn_16_kernelILj91ELj13ELj7E21rocsparse_complex_numIfEEEvi20rocsparse_direction_NS_24const_host_device_scalarIT2_EEPKiS8_PKS5_iiSA_S6_PS5_21rocsparse_index_base_b
		.amdhsa_group_segment_fixed_size 728
		.amdhsa_private_segment_fixed_size 0
		.amdhsa_kernarg_size 80
		.amdhsa_user_sgpr_count 2
		.amdhsa_user_sgpr_dispatch_ptr 0
		.amdhsa_user_sgpr_queue_ptr 0
		.amdhsa_user_sgpr_kernarg_segment_ptr 1
		.amdhsa_user_sgpr_dispatch_id 0
		.amdhsa_user_sgpr_kernarg_preload_length 0
		.amdhsa_user_sgpr_kernarg_preload_offset 0
		.amdhsa_user_sgpr_private_segment_size 0
		.amdhsa_wavefront_size32 1
		.amdhsa_uses_dynamic_stack 0
		.amdhsa_enable_private_segment 0
		.amdhsa_system_sgpr_workgroup_id_x 1
		.amdhsa_system_sgpr_workgroup_id_y 0
		.amdhsa_system_sgpr_workgroup_id_z 0
		.amdhsa_system_sgpr_workgroup_info 0
		.amdhsa_system_vgpr_workitem_id 0
		.amdhsa_next_free_vgpr 16
		.amdhsa_next_free_sgpr 16
		.amdhsa_named_barrier_count 0
		.amdhsa_reserve_vcc 1
		.amdhsa_float_round_mode_32 0
		.amdhsa_float_round_mode_16_64 0
		.amdhsa_float_denorm_mode_32 3
		.amdhsa_float_denorm_mode_16_64 3
		.amdhsa_fp16_overflow 0
		.amdhsa_memory_ordered 1
		.amdhsa_forward_progress 1
		.amdhsa_inst_pref_size 10
		.amdhsa_round_robin_scheduling 0
		.amdhsa_exception_fp_ieee_invalid_op 0
		.amdhsa_exception_fp_denorm_src 0
		.amdhsa_exception_fp_ieee_div_zero 0
		.amdhsa_exception_fp_ieee_overflow 0
		.amdhsa_exception_fp_ieee_underflow 0
		.amdhsa_exception_fp_ieee_inexact 0
		.amdhsa_exception_int_div_zero 0
	.end_amdhsa_kernel
	.section	.text._ZN9rocsparseL22gebsrmvn_mxn_16_kernelILj91ELj13ELj7E21rocsparse_complex_numIfEEEvi20rocsparse_direction_NS_24const_host_device_scalarIT2_EEPKiS8_PKS5_iiSA_S6_PS5_21rocsparse_index_base_b,"axG",@progbits,_ZN9rocsparseL22gebsrmvn_mxn_16_kernelILj91ELj13ELj7E21rocsparse_complex_numIfEEEvi20rocsparse_direction_NS_24const_host_device_scalarIT2_EEPKiS8_PKS5_iiSA_S6_PS5_21rocsparse_index_base_b,comdat
.Lfunc_end74:
	.size	_ZN9rocsparseL22gebsrmvn_mxn_16_kernelILj91ELj13ELj7E21rocsparse_complex_numIfEEEvi20rocsparse_direction_NS_24const_host_device_scalarIT2_EEPKiS8_PKS5_iiSA_S6_PS5_21rocsparse_index_base_b, .Lfunc_end74-_ZN9rocsparseL22gebsrmvn_mxn_16_kernelILj91ELj13ELj7E21rocsparse_complex_numIfEEEvi20rocsparse_direction_NS_24const_host_device_scalarIT2_EEPKiS8_PKS5_iiSA_S6_PS5_21rocsparse_index_base_b
                                        ; -- End function
	.set _ZN9rocsparseL22gebsrmvn_mxn_16_kernelILj91ELj13ELj7E21rocsparse_complex_numIfEEEvi20rocsparse_direction_NS_24const_host_device_scalarIT2_EEPKiS8_PKS5_iiSA_S6_PS5_21rocsparse_index_base_b.num_vgpr, 16
	.set _ZN9rocsparseL22gebsrmvn_mxn_16_kernelILj91ELj13ELj7E21rocsparse_complex_numIfEEEvi20rocsparse_direction_NS_24const_host_device_scalarIT2_EEPKiS8_PKS5_iiSA_S6_PS5_21rocsparse_index_base_b.num_agpr, 0
	.set _ZN9rocsparseL22gebsrmvn_mxn_16_kernelILj91ELj13ELj7E21rocsparse_complex_numIfEEEvi20rocsparse_direction_NS_24const_host_device_scalarIT2_EEPKiS8_PKS5_iiSA_S6_PS5_21rocsparse_index_base_b.numbered_sgpr, 16
	.set _ZN9rocsparseL22gebsrmvn_mxn_16_kernelILj91ELj13ELj7E21rocsparse_complex_numIfEEEvi20rocsparse_direction_NS_24const_host_device_scalarIT2_EEPKiS8_PKS5_iiSA_S6_PS5_21rocsparse_index_base_b.num_named_barrier, 0
	.set _ZN9rocsparseL22gebsrmvn_mxn_16_kernelILj91ELj13ELj7E21rocsparse_complex_numIfEEEvi20rocsparse_direction_NS_24const_host_device_scalarIT2_EEPKiS8_PKS5_iiSA_S6_PS5_21rocsparse_index_base_b.private_seg_size, 0
	.set _ZN9rocsparseL22gebsrmvn_mxn_16_kernelILj91ELj13ELj7E21rocsparse_complex_numIfEEEvi20rocsparse_direction_NS_24const_host_device_scalarIT2_EEPKiS8_PKS5_iiSA_S6_PS5_21rocsparse_index_base_b.uses_vcc, 1
	.set _ZN9rocsparseL22gebsrmvn_mxn_16_kernelILj91ELj13ELj7E21rocsparse_complex_numIfEEEvi20rocsparse_direction_NS_24const_host_device_scalarIT2_EEPKiS8_PKS5_iiSA_S6_PS5_21rocsparse_index_base_b.uses_flat_scratch, 1
	.set _ZN9rocsparseL22gebsrmvn_mxn_16_kernelILj91ELj13ELj7E21rocsparse_complex_numIfEEEvi20rocsparse_direction_NS_24const_host_device_scalarIT2_EEPKiS8_PKS5_iiSA_S6_PS5_21rocsparse_index_base_b.has_dyn_sized_stack, 0
	.set _ZN9rocsparseL22gebsrmvn_mxn_16_kernelILj91ELj13ELj7E21rocsparse_complex_numIfEEEvi20rocsparse_direction_NS_24const_host_device_scalarIT2_EEPKiS8_PKS5_iiSA_S6_PS5_21rocsparse_index_base_b.has_recursion, 0
	.set _ZN9rocsparseL22gebsrmvn_mxn_16_kernelILj91ELj13ELj7E21rocsparse_complex_numIfEEEvi20rocsparse_direction_NS_24const_host_device_scalarIT2_EEPKiS8_PKS5_iiSA_S6_PS5_21rocsparse_index_base_b.has_indirect_call, 0
	.section	.AMDGPU.csdata,"",@progbits
; Kernel info:
; codeLenInByte = 1268
; TotalNumSgprs: 18
; NumVgprs: 16
; ScratchSize: 0
; MemoryBound: 0
; FloatMode: 240
; IeeeMode: 1
; LDSByteSize: 728 bytes/workgroup (compile time only)
; SGPRBlocks: 0
; VGPRBlocks: 0
; NumSGPRsForWavesPerEU: 18
; NumVGPRsForWavesPerEU: 16
; NamedBarCnt: 0
; Occupancy: 16
; WaveLimiterHint : 1
; COMPUTE_PGM_RSRC2:SCRATCH_EN: 0
; COMPUTE_PGM_RSRC2:USER_SGPR: 2
; COMPUTE_PGM_RSRC2:TRAP_HANDLER: 0
; COMPUTE_PGM_RSRC2:TGID_X_EN: 1
; COMPUTE_PGM_RSRC2:TGID_Y_EN: 0
; COMPUTE_PGM_RSRC2:TGID_Z_EN: 0
; COMPUTE_PGM_RSRC2:TIDIG_COMP_CNT: 0
	.section	.text._ZN9rocsparseL22gebsrmvn_mxn_16_kernelILj104ELj13ELj8E21rocsparse_complex_numIfEEEvi20rocsparse_direction_NS_24const_host_device_scalarIT2_EEPKiS8_PKS5_iiSA_S6_PS5_21rocsparse_index_base_b,"axG",@progbits,_ZN9rocsparseL22gebsrmvn_mxn_16_kernelILj104ELj13ELj8E21rocsparse_complex_numIfEEEvi20rocsparse_direction_NS_24const_host_device_scalarIT2_EEPKiS8_PKS5_iiSA_S6_PS5_21rocsparse_index_base_b,comdat
	.globl	_ZN9rocsparseL22gebsrmvn_mxn_16_kernelILj104ELj13ELj8E21rocsparse_complex_numIfEEEvi20rocsparse_direction_NS_24const_host_device_scalarIT2_EEPKiS8_PKS5_iiSA_S6_PS5_21rocsparse_index_base_b ; -- Begin function _ZN9rocsparseL22gebsrmvn_mxn_16_kernelILj104ELj13ELj8E21rocsparse_complex_numIfEEEvi20rocsparse_direction_NS_24const_host_device_scalarIT2_EEPKiS8_PKS5_iiSA_S6_PS5_21rocsparse_index_base_b
	.p2align	8
	.type	_ZN9rocsparseL22gebsrmvn_mxn_16_kernelILj104ELj13ELj8E21rocsparse_complex_numIfEEEvi20rocsparse_direction_NS_24const_host_device_scalarIT2_EEPKiS8_PKS5_iiSA_S6_PS5_21rocsparse_index_base_b,@function
_ZN9rocsparseL22gebsrmvn_mxn_16_kernelILj104ELj13ELj8E21rocsparse_complex_numIfEEEvi20rocsparse_direction_NS_24const_host_device_scalarIT2_EEPKiS8_PKS5_iiSA_S6_PS5_21rocsparse_index_base_b: ; @_ZN9rocsparseL22gebsrmvn_mxn_16_kernelILj104ELj13ELj8E21rocsparse_complex_numIfEEEvi20rocsparse_direction_NS_24const_host_device_scalarIT2_EEPKiS8_PKS5_iiSA_S6_PS5_21rocsparse_index_base_b
; %bb.0:
	s_clause 0x2
	s_load_b64 s[10:11], s[0:1], 0x48
	s_load_b64 s[2:3], s[0:1], 0x8
	;; [unrolled: 1-line block ×3, first 2 shown]
	v_mov_b32_e32 v1, 0
	s_add_nc_u64 s[6:7], s[0:1], 8
	s_add_nc_u64 s[8:9], s[0:1], 56
	s_wait_kmcnt 0x0
	s_bitcmp1_b32 s11, 0
	s_cselect_b32 s3, s7, s3
	s_cselect_b32 s2, s6, s2
	;; [unrolled: 1-line block ×4, first 2 shown]
	s_clause 0x1
	flat_load_b64 v[2:3], v1, s[2:3]
	flat_load_b64 v[4:5], v1, s[4:5]
	s_wait_loadcnt_dscnt 0x101
	v_cmp_eq_f32_e32 vcc_lo, 0, v2
	v_cmp_eq_f32_e64 s2, 0, v3
	s_wait_loadcnt_dscnt 0x0
	v_cmp_eq_f32_e64 s3, 1.0, v4
	v_cmp_eq_f32_e64 s4, 0, v5
	s_and_b32 s2, vcc_lo, s2
	s_and_b32 s3, s3, s4
	s_delay_alu instid0(SALU_CYCLE_1) | instskip(NEXT) | instid1(SALU_CYCLE_1)
	s_and_b32 s2, s2, s3
	s_xor_b32 s2, s2, -1
	s_delay_alu instid0(SALU_CYCLE_1)
	s_and_saveexec_b32 s3, s2
	s_cbranch_execz .LBB75_34
; %bb.1:
	s_clause 0x1
	s_load_b32 s4, s[0:1], 0x4
	s_load_b64 s[2:3], s[0:1], 0x10
	v_and_b32_e32 v8, 7, v0
	s_delay_alu instid0(VALU_DEP_1) | instskip(SKIP_3) | instid1(SALU_CYCLE_1)
	v_mov_b32_e32 v1, v8
	s_wait_kmcnt 0x0
	s_cmp_lg_u32 s4, 1
	s_cselect_b32 s11, -1, 0
	s_and_b32 vcc_lo, exec_lo, s11
	s_cbranch_vccnz .LBB75_3
; %bb.2:
	v_mul_u32_u24_e32 v1, 0x13b2, v0
	s_delay_alu instid0(VALU_DEP_1)
	v_bfe_u32 v1, v1, 16, 3
.LBB75_3:
	s_bfe_u32 s4, ttmp6, 0x4000c
	s_and_b32 s5, ttmp6, 15
	s_add_co_i32 s4, s4, 1
	s_getreg_b32 s6, hwreg(HW_REG_IB_STS2, 6, 4)
	s_mul_i32 s4, ttmp9, s4
	s_delay_alu instid0(SALU_CYCLE_1) | instskip(SKIP_2) | instid1(SALU_CYCLE_1)
	s_add_co_i32 s5, s5, s4
	s_cmp_eq_u32 s6, 0
	s_cselect_b32 s8, ttmp9, s5
	s_ashr_i32 s9, s8, 31
	s_delay_alu instid0(SALU_CYCLE_1) | instskip(NEXT) | instid1(SALU_CYCLE_1)
	s_lshl_b64 s[4:5], s[8:9], 2
	s_add_nc_u64 s[4:5], s[2:3], s[4:5]
	s_load_b64 s[14:15], s[4:5], 0x0
	s_load_b64 s[2:3], s[0:1], 0x40
	s_wait_kmcnt 0x0
	s_cmp_ge_i32 s14, s15
	s_cbranch_scc1 .LBB75_8
; %bb.4:
	s_clause 0x1
	s_load_b128 s[4:7], s[0:1], 0x18
	s_load_b64 s[12:13], s[0:1], 0x30
	v_mad_u32 v10, 0x68, s14, v0
	v_mul_u32_u24_e32 v9, 0x277, v0
	s_wait_xcnt 0x0
	s_mul_i32 s0, s10, 0x68
	v_mov_b64_e32 v[6:7], 0
	s_sub_co_i32 s1, s14, s10
	v_lshrrev_b32_e32 v9, 16, v9
	s_delay_alu instid0(VALU_DEP_4)
	v_subrev_nc_u32_e32 v10, s0, v10
	s_sub_co_i32 s0, s15, s10
	s_branch .LBB75_6
.LBB75_5:                               ;   in Loop: Header=BB75_6 Depth=1
	s_or_b32 exec_lo, exec_lo, s9
	v_add_nc_u32_e32 v10, 0x68, v10
	s_add_co_i32 s1, s1, 1
	s_delay_alu instid0(SALU_CYCLE_1)
	s_cmp_ge_i32 s1, s0
	s_cbranch_scc1 .LBB75_9
.LBB75_6:                               ; =>This Inner Loop Header: Depth=1
	s_delay_alu instid0(VALU_DEP_2) | instskip(SKIP_1) | instid1(VALU_DEP_1)
	v_add_nc_u32_e32 v11, s1, v9
	s_mov_b32 s9, exec_lo
	v_cmpx_gt_i32_e64 s0, v11
	s_cbranch_execz .LBB75_5
; %bb.7:                                ;   in Loop: Header=BB75_6 Depth=1
	s_wait_kmcnt 0x0
	global_load_b32 v11, v11, s[4:5] scale_offset
	s_wait_loadcnt 0x0
	v_subrev_nc_u32_e32 v11, s10, v11
	s_delay_alu instid0(VALU_DEP_1) | instskip(SKIP_4) | instid1(VALU_DEP_1)
	v_lshl_or_b32 v11, v11, 3, v1
	global_load_b64 v[12:13], v11, s[12:13] scale_offset
	global_load_b64 v[14:15], v10, s[6:7] scale_offset
	s_wait_loadcnt 0x0
	v_pk_fma_f32 v[6:7], v[14:15], v[12:13], v[6:7] op_sel_hi:[1,0,1]
	v_pk_fma_f32 v[6:7], v[14:15], v[12:13], v[6:7] op_sel:[1,1,0] op_sel_hi:[0,1,1] neg_lo:[1,0,0]
	s_branch .LBB75_5
.LBB75_8:
	v_mov_b64_e32 v[6:7], 0
.LBB75_9:
	v_lshlrev_b32_e32 v1, 3, v0
	s_and_b32 vcc_lo, exec_lo, s11
	ds_store_b64 v1, v[6:7]
	s_wait_dscnt 0x0
	s_barrier_signal -1
	s_barrier_wait -1
	s_cbranch_vccz .LBB75_19
; %bb.10:
	s_mov_b32 s0, exec_lo
	v_cmpx_gt_u32_e32 4, v8
	s_cbranch_execz .LBB75_12
; %bb.11:
	ds_load_2addr_b64 v[10:13], v1 offset1:4
	s_wait_dscnt 0x0
	v_pk_add_f32 v[10:11], v[12:13], v[10:11]
	ds_store_b64 v1, v[10:11]
.LBB75_12:
	s_or_b32 exec_lo, exec_lo, s0
	s_delay_alu instid0(SALU_CYCLE_1)
	s_mov_b32 s0, exec_lo
	s_wait_dscnt 0x0
	s_barrier_signal -1
	s_barrier_wait -1
	v_cmpx_gt_u32_e32 2, v8
	s_cbranch_execz .LBB75_14
; %bb.13:
	ds_load_2addr_b64 v[10:13], v1 offset1:2
	s_wait_dscnt 0x0
	v_pk_add_f32 v[10:11], v[12:13], v[10:11]
	ds_store_b64 v1, v[10:11]
.LBB75_14:
	s_or_b32 exec_lo, exec_lo, s0
	s_delay_alu instid0(SALU_CYCLE_1)
	s_mov_b32 s0, exec_lo
	s_wait_dscnt 0x0
	s_barrier_signal -1
	s_barrier_wait -1
	v_cmpx_eq_u32_e32 0, v8
	s_cbranch_execz .LBB75_16
; %bb.15:
	ds_load_2addr_b64 v[8:11], v1 offset1:1
	s_wait_dscnt 0x0
	v_pk_add_f32 v[8:9], v[10:11], v[8:9]
	ds_store_b64 v1, v[8:9]
.LBB75_16:
	s_or_b32 exec_lo, exec_lo, s0
	v_mov_b64_e32 v[8:9], v[6:7]
	s_mov_b32 s0, exec_lo
	s_wait_dscnt 0x0
	s_barrier_signal -1
	s_barrier_wait -1
	v_cmpx_gt_u32_e32 13, v0
; %bb.17:
	v_mad_u32_u24 v8, v0, 56, v1
	ds_load_b64 v[8:9], v8
; %bb.18:
	s_or_b32 exec_lo, exec_lo, s0
	s_branch .LBB75_29
.LBB75_19:
                                        ; implicit-def: $vgpr8_vgpr9
	s_cbranch_execz .LBB75_29
; %bb.20:
	s_mov_b32 s0, exec_lo
	v_cmpx_gt_u32_e32 52, v0
	s_cbranch_execz .LBB75_22
; %bb.21:
	s_wait_dscnt 0x0
	ds_load_2addr_b64 v[8:11], v1 offset1:52
	s_wait_dscnt 0x0
	v_pk_add_f32 v[8:9], v[10:11], v[8:9]
	ds_store_b64 v1, v[8:9]
.LBB75_22:
	s_or_b32 exec_lo, exec_lo, s0
	s_delay_alu instid0(SALU_CYCLE_1)
	s_mov_b32 s0, exec_lo
	s_wait_dscnt 0x0
	s_barrier_signal -1
	s_barrier_wait -1
	v_cmpx_gt_u32_e32 26, v0
	s_cbranch_execz .LBB75_24
; %bb.23:
	ds_load_2addr_b64 v[8:11], v1 offset1:26
	s_wait_dscnt 0x0
	v_pk_add_f32 v[8:9], v[10:11], v[8:9]
	ds_store_b64 v1, v[8:9]
.LBB75_24:
	s_or_b32 exec_lo, exec_lo, s0
	s_delay_alu instid0(SALU_CYCLE_1)
	s_mov_b32 s0, exec_lo
	s_wait_dscnt 0x0
	v_cmpx_lt_u32_e32 12, v0
	s_xor_b32 s0, exec_lo, s0
; %bb.25:
                                        ; implicit-def: $vgpr1
; %bb.26:
	s_delay_alu instid0(SALU_CYCLE_1)
	s_and_not1_saveexec_b32 s0, s0
	s_cbranch_execz .LBB75_28
; %bb.27:
	ds_load_2addr_b64 v[6:9], v1 offset1:13
	s_wait_dscnt 0x0
	v_pk_add_f32 v[6:7], v[8:9], v[6:7]
	ds_store_b64 v1, v[6:7]
	s_wait_dscnt 0x0
	ds_load_b64 v[6:7], v1
.LBB75_28:
	s_or_b32 exec_lo, exec_lo, s0
	s_wait_dscnt 0x0
	v_mov_b64_e32 v[8:9], v[6:7]
.LBB75_29:
	v_cmp_gt_u32_e32 vcc_lo, 13, v0
	s_and_b32 exec_lo, exec_lo, vcc_lo
	s_cbranch_execz .LBB75_34
; %bb.30:
	v_mad_u32 v6, s8, 13, v0
	v_cmp_eq_f32_e32 vcc_lo, 0, v4
	v_cmp_eq_f32_e64 s0, 0, v5
	v_xor_b32_e32 v0, 0x80000000, v3
	s_and_b32 s0, vcc_lo, s0
	s_delay_alu instid0(SALU_CYCLE_1) | instskip(NEXT) | instid1(SALU_CYCLE_1)
	s_and_saveexec_b32 s1, s0
	s_xor_b32 s0, exec_lo, s1
	s_cbranch_execz .LBB75_32
; %bb.31:
	v_mov_b32_e32 v1, v2
                                        ; implicit-def: $vgpr4_vgpr5
	s_wait_dscnt 0x0
	s_delay_alu instid0(VALU_DEP_1) | instskip(NEXT) | instid1(VALU_DEP_1)
	v_pk_mul_f32 v[0:1], v[8:9], v[0:1] op_sel:[1,0]
	v_pk_fma_f32 v[0:1], v[2:3], v[8:9], v[0:1] op_sel_hi:[1,0,1]
                                        ; implicit-def: $vgpr2_vgpr3
                                        ; implicit-def: $vgpr8_vgpr9
	global_store_b64 v6, v[0:1], s[2:3] scale_offset
                                        ; implicit-def: $vgpr6
                                        ; implicit-def: $vgpr0
.LBB75_32:
	s_wait_xcnt 0x0
	s_and_not1_saveexec_b32 s0, s0
	s_cbranch_execz .LBB75_34
; %bb.33:
	global_load_b64 v[10:11], v6, s[2:3] scale_offset
	v_mov_b32_e32 v1, v2
	s_wait_dscnt 0x0
	s_delay_alu instid0(VALU_DEP_1) | instskip(NEXT) | instid1(VALU_DEP_1)
	v_pk_mul_f32 v[0:1], v[8:9], v[0:1] op_sel:[1,0]
	v_pk_fma_f32 v[0:1], v[2:3], v[8:9], v[0:1] op_sel_hi:[1,0,1]
	v_xor_b32_e32 v2, 0x80000000, v5
	v_mov_b32_e32 v3, v4
	s_wait_loadcnt 0x0
	s_delay_alu instid0(VALU_DEP_3) | instskip(NEXT) | instid1(VALU_DEP_1)
	v_pk_fma_f32 v[0:1], v[4:5], v[10:11], v[0:1] op_sel_hi:[1,0,1]
	v_pk_fma_f32 v[0:1], v[2:3], v[10:11], v[0:1] op_sel:[0,1,0]
	global_store_b64 v6, v[0:1], s[2:3] scale_offset
.LBB75_34:
	s_endpgm
	.section	.rodata,"a",@progbits
	.p2align	6, 0x0
	.amdhsa_kernel _ZN9rocsparseL22gebsrmvn_mxn_16_kernelILj104ELj13ELj8E21rocsparse_complex_numIfEEEvi20rocsparse_direction_NS_24const_host_device_scalarIT2_EEPKiS8_PKS5_iiSA_S6_PS5_21rocsparse_index_base_b
		.amdhsa_group_segment_fixed_size 832
		.amdhsa_private_segment_fixed_size 0
		.amdhsa_kernarg_size 80
		.amdhsa_user_sgpr_count 2
		.amdhsa_user_sgpr_dispatch_ptr 0
		.amdhsa_user_sgpr_queue_ptr 0
		.amdhsa_user_sgpr_kernarg_segment_ptr 1
		.amdhsa_user_sgpr_dispatch_id 0
		.amdhsa_user_sgpr_kernarg_preload_length 0
		.amdhsa_user_sgpr_kernarg_preload_offset 0
		.amdhsa_user_sgpr_private_segment_size 0
		.amdhsa_wavefront_size32 1
		.amdhsa_uses_dynamic_stack 0
		.amdhsa_enable_private_segment 0
		.amdhsa_system_sgpr_workgroup_id_x 1
		.amdhsa_system_sgpr_workgroup_id_y 0
		.amdhsa_system_sgpr_workgroup_id_z 0
		.amdhsa_system_sgpr_workgroup_info 0
		.amdhsa_system_vgpr_workitem_id 0
		.amdhsa_next_free_vgpr 16
		.amdhsa_next_free_sgpr 16
		.amdhsa_named_barrier_count 0
		.amdhsa_reserve_vcc 1
		.amdhsa_float_round_mode_32 0
		.amdhsa_float_round_mode_16_64 0
		.amdhsa_float_denorm_mode_32 3
		.amdhsa_float_denorm_mode_16_64 3
		.amdhsa_fp16_overflow 0
		.amdhsa_memory_ordered 1
		.amdhsa_forward_progress 1
		.amdhsa_inst_pref_size 10
		.amdhsa_round_robin_scheduling 0
		.amdhsa_exception_fp_ieee_invalid_op 0
		.amdhsa_exception_fp_denorm_src 0
		.amdhsa_exception_fp_ieee_div_zero 0
		.amdhsa_exception_fp_ieee_overflow 0
		.amdhsa_exception_fp_ieee_underflow 0
		.amdhsa_exception_fp_ieee_inexact 0
		.amdhsa_exception_int_div_zero 0
	.end_amdhsa_kernel
	.section	.text._ZN9rocsparseL22gebsrmvn_mxn_16_kernelILj104ELj13ELj8E21rocsparse_complex_numIfEEEvi20rocsparse_direction_NS_24const_host_device_scalarIT2_EEPKiS8_PKS5_iiSA_S6_PS5_21rocsparse_index_base_b,"axG",@progbits,_ZN9rocsparseL22gebsrmvn_mxn_16_kernelILj104ELj13ELj8E21rocsparse_complex_numIfEEEvi20rocsparse_direction_NS_24const_host_device_scalarIT2_EEPKiS8_PKS5_iiSA_S6_PS5_21rocsparse_index_base_b,comdat
.Lfunc_end75:
	.size	_ZN9rocsparseL22gebsrmvn_mxn_16_kernelILj104ELj13ELj8E21rocsparse_complex_numIfEEEvi20rocsparse_direction_NS_24const_host_device_scalarIT2_EEPKiS8_PKS5_iiSA_S6_PS5_21rocsparse_index_base_b, .Lfunc_end75-_ZN9rocsparseL22gebsrmvn_mxn_16_kernelILj104ELj13ELj8E21rocsparse_complex_numIfEEEvi20rocsparse_direction_NS_24const_host_device_scalarIT2_EEPKiS8_PKS5_iiSA_S6_PS5_21rocsparse_index_base_b
                                        ; -- End function
	.set _ZN9rocsparseL22gebsrmvn_mxn_16_kernelILj104ELj13ELj8E21rocsparse_complex_numIfEEEvi20rocsparse_direction_NS_24const_host_device_scalarIT2_EEPKiS8_PKS5_iiSA_S6_PS5_21rocsparse_index_base_b.num_vgpr, 16
	.set _ZN9rocsparseL22gebsrmvn_mxn_16_kernelILj104ELj13ELj8E21rocsparse_complex_numIfEEEvi20rocsparse_direction_NS_24const_host_device_scalarIT2_EEPKiS8_PKS5_iiSA_S6_PS5_21rocsparse_index_base_b.num_agpr, 0
	.set _ZN9rocsparseL22gebsrmvn_mxn_16_kernelILj104ELj13ELj8E21rocsparse_complex_numIfEEEvi20rocsparse_direction_NS_24const_host_device_scalarIT2_EEPKiS8_PKS5_iiSA_S6_PS5_21rocsparse_index_base_b.numbered_sgpr, 16
	.set _ZN9rocsparseL22gebsrmvn_mxn_16_kernelILj104ELj13ELj8E21rocsparse_complex_numIfEEEvi20rocsparse_direction_NS_24const_host_device_scalarIT2_EEPKiS8_PKS5_iiSA_S6_PS5_21rocsparse_index_base_b.num_named_barrier, 0
	.set _ZN9rocsparseL22gebsrmvn_mxn_16_kernelILj104ELj13ELj8E21rocsparse_complex_numIfEEEvi20rocsparse_direction_NS_24const_host_device_scalarIT2_EEPKiS8_PKS5_iiSA_S6_PS5_21rocsparse_index_base_b.private_seg_size, 0
	.set _ZN9rocsparseL22gebsrmvn_mxn_16_kernelILj104ELj13ELj8E21rocsparse_complex_numIfEEEvi20rocsparse_direction_NS_24const_host_device_scalarIT2_EEPKiS8_PKS5_iiSA_S6_PS5_21rocsparse_index_base_b.uses_vcc, 1
	.set _ZN9rocsparseL22gebsrmvn_mxn_16_kernelILj104ELj13ELj8E21rocsparse_complex_numIfEEEvi20rocsparse_direction_NS_24const_host_device_scalarIT2_EEPKiS8_PKS5_iiSA_S6_PS5_21rocsparse_index_base_b.uses_flat_scratch, 1
	.set _ZN9rocsparseL22gebsrmvn_mxn_16_kernelILj104ELj13ELj8E21rocsparse_complex_numIfEEEvi20rocsparse_direction_NS_24const_host_device_scalarIT2_EEPKiS8_PKS5_iiSA_S6_PS5_21rocsparse_index_base_b.has_dyn_sized_stack, 0
	.set _ZN9rocsparseL22gebsrmvn_mxn_16_kernelILj104ELj13ELj8E21rocsparse_complex_numIfEEEvi20rocsparse_direction_NS_24const_host_device_scalarIT2_EEPKiS8_PKS5_iiSA_S6_PS5_21rocsparse_index_base_b.has_recursion, 0
	.set _ZN9rocsparseL22gebsrmvn_mxn_16_kernelILj104ELj13ELj8E21rocsparse_complex_numIfEEEvi20rocsparse_direction_NS_24const_host_device_scalarIT2_EEPKiS8_PKS5_iiSA_S6_PS5_21rocsparse_index_base_b.has_indirect_call, 0
	.section	.AMDGPU.csdata,"",@progbits
; Kernel info:
; codeLenInByte = 1180
; TotalNumSgprs: 18
; NumVgprs: 16
; ScratchSize: 0
; MemoryBound: 0
; FloatMode: 240
; IeeeMode: 1
; LDSByteSize: 832 bytes/workgroup (compile time only)
; SGPRBlocks: 0
; VGPRBlocks: 0
; NumSGPRsForWavesPerEU: 18
; NumVGPRsForWavesPerEU: 16
; NamedBarCnt: 0
; Occupancy: 16
; WaveLimiterHint : 1
; COMPUTE_PGM_RSRC2:SCRATCH_EN: 0
; COMPUTE_PGM_RSRC2:USER_SGPR: 2
; COMPUTE_PGM_RSRC2:TRAP_HANDLER: 0
; COMPUTE_PGM_RSRC2:TGID_X_EN: 1
; COMPUTE_PGM_RSRC2:TGID_Y_EN: 0
; COMPUTE_PGM_RSRC2:TGID_Z_EN: 0
; COMPUTE_PGM_RSRC2:TIDIG_COMP_CNT: 0
	.section	.text._ZN9rocsparseL23gebsrmvn_general_kernelILj256ELj16E21rocsparse_complex_numIfEEEvi20rocsparse_direction_NS_24const_host_device_scalarIT1_EEPKiS8_PKS5_iiSA_S6_PS5_21rocsparse_index_base_b,"axG",@progbits,_ZN9rocsparseL23gebsrmvn_general_kernelILj256ELj16E21rocsparse_complex_numIfEEEvi20rocsparse_direction_NS_24const_host_device_scalarIT1_EEPKiS8_PKS5_iiSA_S6_PS5_21rocsparse_index_base_b,comdat
	.globl	_ZN9rocsparseL23gebsrmvn_general_kernelILj256ELj16E21rocsparse_complex_numIfEEEvi20rocsparse_direction_NS_24const_host_device_scalarIT1_EEPKiS8_PKS5_iiSA_S6_PS5_21rocsparse_index_base_b ; -- Begin function _ZN9rocsparseL23gebsrmvn_general_kernelILj256ELj16E21rocsparse_complex_numIfEEEvi20rocsparse_direction_NS_24const_host_device_scalarIT1_EEPKiS8_PKS5_iiSA_S6_PS5_21rocsparse_index_base_b
	.p2align	8
	.type	_ZN9rocsparseL23gebsrmvn_general_kernelILj256ELj16E21rocsparse_complex_numIfEEEvi20rocsparse_direction_NS_24const_host_device_scalarIT1_EEPKiS8_PKS5_iiSA_S6_PS5_21rocsparse_index_base_b,@function
_ZN9rocsparseL23gebsrmvn_general_kernelILj256ELj16E21rocsparse_complex_numIfEEEvi20rocsparse_direction_NS_24const_host_device_scalarIT1_EEPKiS8_PKS5_iiSA_S6_PS5_21rocsparse_index_base_b: ; @_ZN9rocsparseL23gebsrmvn_general_kernelILj256ELj16E21rocsparse_complex_numIfEEEvi20rocsparse_direction_NS_24const_host_device_scalarIT1_EEPKiS8_PKS5_iiSA_S6_PS5_21rocsparse_index_base_b
; %bb.0:
	s_clause 0x2
	s_load_b64 s[8:9], s[0:1], 0x48
	s_load_b64 s[2:3], s[0:1], 0x8
	;; [unrolled: 1-line block ×3, first 2 shown]
	v_mov_b32_e32 v1, 0
	s_add_nc_u64 s[6:7], s[0:1], 8
	s_add_nc_u64 s[10:11], s[0:1], 56
	s_wait_kmcnt 0x0
	s_bitcmp1_b32 s9, 0
	s_cselect_b32 s3, s7, s3
	s_cselect_b32 s2, s6, s2
	;; [unrolled: 1-line block ×4, first 2 shown]
	s_clause 0x1
	flat_load_b64 v[2:3], v1, s[2:3]
	flat_load_b64 v[4:5], v1, s[4:5]
	s_wait_loadcnt_dscnt 0x101
	v_cmp_eq_f32_e32 vcc_lo, 0, v2
	v_cmp_eq_f32_e64 s2, 0, v3
	s_wait_loadcnt_dscnt 0x0
	v_cmp_eq_f32_e64 s3, 1.0, v4
	v_cmp_eq_f32_e64 s4, 0, v5
	s_and_b32 s2, vcc_lo, s2
	s_and_b32 s3, s3, s4
	s_delay_alu instid0(SALU_CYCLE_1) | instskip(NEXT) | instid1(SALU_CYCLE_1)
	s_and_b32 s2, s2, s3
	s_xor_b32 s2, s2, -1
	s_delay_alu instid0(SALU_CYCLE_1)
	s_and_saveexec_b32 s3, s2
	s_cbranch_execz .LBB76_20
; %bb.1:
	s_load_b64 s[10:11], s[0:1], 0x28
	v_lshrrev_b32_e32 v11, 4, v0
	s_wait_kmcnt 0x0
	s_delay_alu instid0(VALU_DEP_1)
	v_cmp_gt_i32_e32 vcc_lo, s10, v11
	s_and_b32 exec_lo, exec_lo, vcc_lo
	s_cbranch_execz .LBB76_20
; %bb.2:
	s_clause 0x1
	s_load_b128 s[4:7], s[0:1], 0x10
	s_load_b32 s20, s[0:1], 0x4
	s_bfe_u32 s2, ttmp6, 0x4000c
	s_and_b32 s3, ttmp6, 15
	s_add_co_i32 s2, s2, 1
	s_getreg_b32 s9, hwreg(HW_REG_IB_STS2, 6, 4)
	s_mul_i32 s2, ttmp9, s2
	v_and_b32_e32 v12, 15, v0
	s_add_co_i32 s3, s3, s2
	s_cmp_eq_u32 s9, 0
	v_mbcnt_lo_u32_b32 v0, -1, 0
	s_cselect_b32 s22, ttmp9, s3
	s_mov_b32 s9, 0
	s_ashr_i32 s23, s22, 31
	s_mul_i32 s21, s10, s22
	s_lshl_b64 s[2:3], s[22:23], 2
	v_xor_b32_e32 v7, 2, v0
	v_xor_b32_e32 v6, 4, v0
	;; [unrolled: 1-line block ×3, first 2 shown]
	s_mul_i32 s23, s11, s10
	s_wait_kmcnt 0x0
	s_add_nc_u64 s[2:3], s[4:5], s[2:3]
	s_load_b64 s[18:19], s[2:3], 0x0
	v_cmp_gt_i32_e32 vcc_lo, 32, v1
	s_clause 0x2
	s_load_b64 s[4:5], s[0:1], 0x20
	s_load_b64 s[12:13], s[0:1], 0x30
	;; [unrolled: 1-line block ×3, first 2 shown]
	s_wait_xcnt 0x0
	v_cmp_eq_f32_e64 s2, 0, v5
	v_cndmask_b32_e32 v1, v0, v1, vcc_lo
	v_cmp_gt_i32_e32 vcc_lo, 32, v6
	v_cmp_gt_i32_e64 s0, s11, v12
	v_cmp_eq_u32_e64 s1, 15, v12
	s_delay_alu instid0(VALU_DEP_4) | instskip(SKIP_2) | instid1(VALU_DEP_3)
	v_dual_cndmask_b32 v6, v0, v6 :: v_dual_lshlrev_b32 v13, 2, v1
	v_xor_b32_e32 v8, 1, v0
	v_cmp_gt_i32_e32 vcc_lo, 32, v7
	v_dual_mov_b32 v1, v2 :: v_dual_lshlrev_b32 v14, 2, v6
	v_xor_b32_e32 v6, 0x80000000, v5
	v_cndmask_b32_e32 v7, v0, v7, vcc_lo
	s_wait_kmcnt 0x0
	s_sub_co_i32 s16, s18, s8
	v_cmp_gt_i32_e32 vcc_lo, 32, v8
	v_mad_u32 v9, s10, s16, v11
	s_sub_co_i32 s17, s19, s8
	s_cmp_lt_i32 s18, s19
	v_dual_cndmask_b32 v0, v0, v8 :: v_dual_lshlrev_b32 v15, 2, v7
	v_cmp_eq_f32_e32 vcc_lo, 0, v4
	v_mov_b32_e32 v7, v4
	s_cselect_b32 s18, -1, 0
	s_cmp_lg_u32 s20, 0
	v_lshlrev_b32_e32 v16, 2, v0
	v_xor_b32_e32 v0, 0x80000000, v3
	v_mul_lo_u32 v17, s11, v9
	s_cselect_b32 s19, -1, 0
	s_and_b32 s20, vcc_lo, s2
	s_lshl_b32 s22, s11, 4
	s_branch .LBB76_4
.LBB76_3:                               ;   in Loop: Header=BB76_4 Depth=1
	s_wait_xcnt 0x0
	s_or_b32 exec_lo, exec_lo, s2
	v_dual_add_nc_u32 v11, 16, v11 :: v_dual_add_nc_u32 v17, s22, v17
	s_delay_alu instid0(VALU_DEP_1) | instskip(SKIP_1) | instid1(SALU_CYCLE_1)
	v_cmp_le_i32_e32 vcc_lo, s10, v11
	s_or_b32 s9, vcc_lo, s9
	s_and_not1_b32 exec_lo, exec_lo, s9
	s_cbranch_execz .LBB76_20
.LBB76_4:                               ; =>This Loop Header: Depth=1
                                        ;     Child Loop BB76_8 Depth 2
                                        ;       Child Loop BB76_11 Depth 3
	v_mov_b64_e32 v[8:9], 0
	s_and_not1_b32 vcc_lo, exec_lo, s18
	s_cbranch_vccnz .LBB76_15
; %bb.5:                                ;   in Loop: Header=BB76_4 Depth=1
	s_wait_dscnt 0x1
	s_delay_alu instid0(VALU_DEP_2)
	v_mov_b32_e32 v10, v17
	s_mov_b32 s2, s16
	s_branch .LBB76_8
.LBB76_6:                               ;   in Loop: Header=BB76_8 Depth=2
	s_or_b32 exec_lo, exec_lo, s25
.LBB76_7:                               ;   in Loop: Header=BB76_8 Depth=2
	s_delay_alu instid0(SALU_CYCLE_1) | instskip(SKIP_2) | instid1(SALU_CYCLE_1)
	s_or_b32 exec_lo, exec_lo, s24
	v_add_nc_u32_e32 v10, s23, v10
	s_add_co_i32 s2, s2, 1
	s_cmp_ge_i32 s2, s17
	s_cbranch_scc1 .LBB76_15
.LBB76_8:                               ;   Parent Loop BB76_4 Depth=1
                                        ; =>  This Loop Header: Depth=2
                                        ;       Child Loop BB76_11 Depth 3
	s_and_saveexec_b32 s24, s0
	s_cbranch_execz .LBB76_7
; %bb.9:                                ;   in Loop: Header=BB76_8 Depth=2
	s_ashr_i32 s3, s2, 31
	s_wait_dscnt 0x0
	v_mov_b32_e32 v18, v12
	s_lshl_b64 s[26:27], s[2:3], 2
	s_mov_b32 s25, 0
	s_add_nc_u64 s[26:27], s[6:7], s[26:27]
	s_load_b32 s3, s[26:27], 0x0
	s_wait_kmcnt 0x0
	s_wait_xcnt 0x0
	s_sub_co_i32 s26, s3, s8
	s_mul_i32 s3, s2, s11
	s_mul_i32 s26, s26, s11
	s_branch .LBB76_11
.LBB76_10:                              ;   in Loop: Header=BB76_11 Depth=3
	v_dual_add_nc_u32 v24, s26, v18 :: v_dual_add_nc_u32 v18, 16, v18
	global_load_b64 v[20:21], v24, s[12:13] scale_offset
	global_load_b64 v[22:23], v19, s[4:5] scale_offset
	v_cmp_le_i32_e32 vcc_lo, s11, v18
	s_or_b32 s25, vcc_lo, s25
	s_wait_loadcnt 0x0
	v_pk_fma_f32 v[8:9], v[22:23], v[20:21], v[8:9] op_sel_hi:[1,0,1]
	s_delay_alu instid0(VALU_DEP_1)
	v_pk_fma_f32 v[8:9], v[22:23], v[20:21], v[8:9] op_sel:[1,1,0] op_sel_hi:[0,1,1] neg_lo:[1,0,0]
	s_wait_xcnt 0x0
	s_and_not1_b32 exec_lo, exec_lo, s25
	s_cbranch_execz .LBB76_6
.LBB76_11:                              ;   Parent Loop BB76_4 Depth=1
                                        ;     Parent Loop BB76_8 Depth=2
                                        ; =>    This Inner Loop Header: Depth=3
	s_and_b32 vcc_lo, exec_lo, s19
	s_cbranch_vccz .LBB76_13
; %bb.12:                               ;   in Loop: Header=BB76_11 Depth=3
	v_add_nc_u32_e32 v19, s3, v18
	s_delay_alu instid0(VALU_DEP_1)
	v_mad_u32 v19, v19, s10, v11
	s_cbranch_execnz .LBB76_10
	s_branch .LBB76_14
.LBB76_13:                              ;   in Loop: Header=BB76_11 Depth=3
                                        ; implicit-def: $vgpr19
.LBB76_14:                              ;   in Loop: Header=BB76_11 Depth=3
	v_add_nc_u32_e32 v19, v10, v18
	s_branch .LBB76_10
.LBB76_15:                              ;   in Loop: Header=BB76_4 Depth=1
	s_wait_dscnt 0x1
	ds_bpermute_b32 v10, v13, v8
	s_wait_dscnt 0x1
	ds_bpermute_b32 v18, v13, v9
	s_wait_dscnt 0x1
	v_add_f32_e32 v8, v8, v10
	s_wait_dscnt 0x0
	v_add_f32_e32 v9, v9, v18
	ds_bpermute_b32 v10, v14, v8
	ds_bpermute_b32 v18, v14, v9
	s_wait_dscnt 0x1
	v_add_f32_e32 v8, v8, v10
	s_wait_dscnt 0x0
	v_add_f32_e32 v9, v9, v18
	ds_bpermute_b32 v10, v15, v8
	;; [unrolled: 6-line block ×3, first 2 shown]
	ds_bpermute_b32 v18, v16, v9
	s_and_saveexec_b32 s2, s1
	s_cbranch_execz .LBB76_3
; %bb.16:                               ;   in Loop: Header=BB76_4 Depth=1
	s_wait_dscnt 0x1
	v_add_f32_e32 v8, v8, v10
	s_wait_dscnt 0x0
	v_dual_add_f32 v10, v9, v18 :: v_dual_add_nc_u32 v9, s21, v11
	s_and_saveexec_b32 s3, s20
	s_delay_alu instid0(SALU_CYCLE_1)
	s_xor_b32 s3, exec_lo, s3
	s_cbranch_execz .LBB76_18
; %bb.17:                               ;   in Loop: Header=BB76_4 Depth=1
	s_delay_alu instid0(VALU_DEP_1) | instskip(NEXT) | instid1(VALU_DEP_1)
	v_pk_mul_f32 v[18:19], v[10:11], v[0:1] op_sel_hi:[0,1]
                                        ; implicit-def: $vgpr10
	v_pk_fma_f32 v[18:19], v[2:3], v[8:9], v[18:19] op_sel_hi:[1,0,1]
                                        ; implicit-def: $vgpr8
	global_store_b64 v9, v[18:19], s[14:15] scale_offset
                                        ; implicit-def: $vgpr9
.LBB76_18:                              ;   in Loop: Header=BB76_4 Depth=1
	s_wait_xcnt 0x0
	s_and_not1_saveexec_b32 s3, s3
	s_cbranch_execz .LBB76_3
; %bb.19:                               ;   in Loop: Header=BB76_4 Depth=1
	global_load_b64 v[18:19], v9, s[14:15] scale_offset
	v_pk_mul_f32 v[20:21], v[10:11], v[0:1] op_sel_hi:[0,1]
	s_delay_alu instid0(VALU_DEP_1) | instskip(SKIP_1) | instid1(VALU_DEP_1)
	v_pk_fma_f32 v[20:21], v[2:3], v[8:9], v[20:21] op_sel_hi:[1,0,1]
	s_wait_loadcnt 0x0
	v_pk_fma_f32 v[20:21], v[4:5], v[18:19], v[20:21] op_sel_hi:[1,0,1]
	s_delay_alu instid0(VALU_DEP_1)
	v_pk_fma_f32 v[18:19], v[6:7], v[18:19], v[20:21] op_sel:[0,1,0]
	global_store_b64 v9, v[18:19], s[14:15] scale_offset
	s_branch .LBB76_3
.LBB76_20:
	s_endpgm
	.section	.rodata,"a",@progbits
	.p2align	6, 0x0
	.amdhsa_kernel _ZN9rocsparseL23gebsrmvn_general_kernelILj256ELj16E21rocsparse_complex_numIfEEEvi20rocsparse_direction_NS_24const_host_device_scalarIT1_EEPKiS8_PKS5_iiSA_S6_PS5_21rocsparse_index_base_b
		.amdhsa_group_segment_fixed_size 0
		.amdhsa_private_segment_fixed_size 0
		.amdhsa_kernarg_size 80
		.amdhsa_user_sgpr_count 2
		.amdhsa_user_sgpr_dispatch_ptr 0
		.amdhsa_user_sgpr_queue_ptr 0
		.amdhsa_user_sgpr_kernarg_segment_ptr 1
		.amdhsa_user_sgpr_dispatch_id 0
		.amdhsa_user_sgpr_kernarg_preload_length 0
		.amdhsa_user_sgpr_kernarg_preload_offset 0
		.amdhsa_user_sgpr_private_segment_size 0
		.amdhsa_wavefront_size32 1
		.amdhsa_uses_dynamic_stack 0
		.amdhsa_enable_private_segment 0
		.amdhsa_system_sgpr_workgroup_id_x 1
		.amdhsa_system_sgpr_workgroup_id_y 0
		.amdhsa_system_sgpr_workgroup_id_z 0
		.amdhsa_system_sgpr_workgroup_info 0
		.amdhsa_system_vgpr_workitem_id 0
		.amdhsa_next_free_vgpr 25
		.amdhsa_next_free_sgpr 28
		.amdhsa_named_barrier_count 0
		.amdhsa_reserve_vcc 1
		.amdhsa_float_round_mode_32 0
		.amdhsa_float_round_mode_16_64 0
		.amdhsa_float_denorm_mode_32 3
		.amdhsa_float_denorm_mode_16_64 3
		.amdhsa_fp16_overflow 0
		.amdhsa_memory_ordered 1
		.amdhsa_forward_progress 1
		.amdhsa_inst_pref_size 9
		.amdhsa_round_robin_scheduling 0
		.amdhsa_exception_fp_ieee_invalid_op 0
		.amdhsa_exception_fp_denorm_src 0
		.amdhsa_exception_fp_ieee_div_zero 0
		.amdhsa_exception_fp_ieee_overflow 0
		.amdhsa_exception_fp_ieee_underflow 0
		.amdhsa_exception_fp_ieee_inexact 0
		.amdhsa_exception_int_div_zero 0
	.end_amdhsa_kernel
	.section	.text._ZN9rocsparseL23gebsrmvn_general_kernelILj256ELj16E21rocsparse_complex_numIfEEEvi20rocsparse_direction_NS_24const_host_device_scalarIT1_EEPKiS8_PKS5_iiSA_S6_PS5_21rocsparse_index_base_b,"axG",@progbits,_ZN9rocsparseL23gebsrmvn_general_kernelILj256ELj16E21rocsparse_complex_numIfEEEvi20rocsparse_direction_NS_24const_host_device_scalarIT1_EEPKiS8_PKS5_iiSA_S6_PS5_21rocsparse_index_base_b,comdat
.Lfunc_end76:
	.size	_ZN9rocsparseL23gebsrmvn_general_kernelILj256ELj16E21rocsparse_complex_numIfEEEvi20rocsparse_direction_NS_24const_host_device_scalarIT1_EEPKiS8_PKS5_iiSA_S6_PS5_21rocsparse_index_base_b, .Lfunc_end76-_ZN9rocsparseL23gebsrmvn_general_kernelILj256ELj16E21rocsparse_complex_numIfEEEvi20rocsparse_direction_NS_24const_host_device_scalarIT1_EEPKiS8_PKS5_iiSA_S6_PS5_21rocsparse_index_base_b
                                        ; -- End function
	.set _ZN9rocsparseL23gebsrmvn_general_kernelILj256ELj16E21rocsparse_complex_numIfEEEvi20rocsparse_direction_NS_24const_host_device_scalarIT1_EEPKiS8_PKS5_iiSA_S6_PS5_21rocsparse_index_base_b.num_vgpr, 25
	.set _ZN9rocsparseL23gebsrmvn_general_kernelILj256ELj16E21rocsparse_complex_numIfEEEvi20rocsparse_direction_NS_24const_host_device_scalarIT1_EEPKiS8_PKS5_iiSA_S6_PS5_21rocsparse_index_base_b.num_agpr, 0
	.set _ZN9rocsparseL23gebsrmvn_general_kernelILj256ELj16E21rocsparse_complex_numIfEEEvi20rocsparse_direction_NS_24const_host_device_scalarIT1_EEPKiS8_PKS5_iiSA_S6_PS5_21rocsparse_index_base_b.numbered_sgpr, 28
	.set _ZN9rocsparseL23gebsrmvn_general_kernelILj256ELj16E21rocsparse_complex_numIfEEEvi20rocsparse_direction_NS_24const_host_device_scalarIT1_EEPKiS8_PKS5_iiSA_S6_PS5_21rocsparse_index_base_b.num_named_barrier, 0
	.set _ZN9rocsparseL23gebsrmvn_general_kernelILj256ELj16E21rocsparse_complex_numIfEEEvi20rocsparse_direction_NS_24const_host_device_scalarIT1_EEPKiS8_PKS5_iiSA_S6_PS5_21rocsparse_index_base_b.private_seg_size, 0
	.set _ZN9rocsparseL23gebsrmvn_general_kernelILj256ELj16E21rocsparse_complex_numIfEEEvi20rocsparse_direction_NS_24const_host_device_scalarIT1_EEPKiS8_PKS5_iiSA_S6_PS5_21rocsparse_index_base_b.uses_vcc, 1
	.set _ZN9rocsparseL23gebsrmvn_general_kernelILj256ELj16E21rocsparse_complex_numIfEEEvi20rocsparse_direction_NS_24const_host_device_scalarIT1_EEPKiS8_PKS5_iiSA_S6_PS5_21rocsparse_index_base_b.uses_flat_scratch, 1
	.set _ZN9rocsparseL23gebsrmvn_general_kernelILj256ELj16E21rocsparse_complex_numIfEEEvi20rocsparse_direction_NS_24const_host_device_scalarIT1_EEPKiS8_PKS5_iiSA_S6_PS5_21rocsparse_index_base_b.has_dyn_sized_stack, 0
	.set _ZN9rocsparseL23gebsrmvn_general_kernelILj256ELj16E21rocsparse_complex_numIfEEEvi20rocsparse_direction_NS_24const_host_device_scalarIT1_EEPKiS8_PKS5_iiSA_S6_PS5_21rocsparse_index_base_b.has_recursion, 0
	.set _ZN9rocsparseL23gebsrmvn_general_kernelILj256ELj16E21rocsparse_complex_numIfEEEvi20rocsparse_direction_NS_24const_host_device_scalarIT1_EEPKiS8_PKS5_iiSA_S6_PS5_21rocsparse_index_base_b.has_indirect_call, 0
	.section	.AMDGPU.csdata,"",@progbits
; Kernel info:
; codeLenInByte = 1072
; TotalNumSgprs: 30
; NumVgprs: 25
; ScratchSize: 0
; MemoryBound: 0
; FloatMode: 240
; IeeeMode: 1
; LDSByteSize: 0 bytes/workgroup (compile time only)
; SGPRBlocks: 0
; VGPRBlocks: 1
; NumSGPRsForWavesPerEU: 30
; NumVGPRsForWavesPerEU: 25
; NamedBarCnt: 0
; Occupancy: 16
; WaveLimiterHint : 1
; COMPUTE_PGM_RSRC2:SCRATCH_EN: 0
; COMPUTE_PGM_RSRC2:USER_SGPR: 2
; COMPUTE_PGM_RSRC2:TRAP_HANDLER: 0
; COMPUTE_PGM_RSRC2:TGID_X_EN: 1
; COMPUTE_PGM_RSRC2:TGID_Y_EN: 0
; COMPUTE_PGM_RSRC2:TGID_Z_EN: 0
; COMPUTE_PGM_RSRC2:TIDIG_COMP_CNT: 0
	.section	.text._ZN9rocsparseL23gebsrmvn_general_kernelILj512ELj32E21rocsparse_complex_numIfEEEvi20rocsparse_direction_NS_24const_host_device_scalarIT1_EEPKiS8_PKS5_iiSA_S6_PS5_21rocsparse_index_base_b,"axG",@progbits,_ZN9rocsparseL23gebsrmvn_general_kernelILj512ELj32E21rocsparse_complex_numIfEEEvi20rocsparse_direction_NS_24const_host_device_scalarIT1_EEPKiS8_PKS5_iiSA_S6_PS5_21rocsparse_index_base_b,comdat
	.globl	_ZN9rocsparseL23gebsrmvn_general_kernelILj512ELj32E21rocsparse_complex_numIfEEEvi20rocsparse_direction_NS_24const_host_device_scalarIT1_EEPKiS8_PKS5_iiSA_S6_PS5_21rocsparse_index_base_b ; -- Begin function _ZN9rocsparseL23gebsrmvn_general_kernelILj512ELj32E21rocsparse_complex_numIfEEEvi20rocsparse_direction_NS_24const_host_device_scalarIT1_EEPKiS8_PKS5_iiSA_S6_PS5_21rocsparse_index_base_b
	.p2align	8
	.type	_ZN9rocsparseL23gebsrmvn_general_kernelILj512ELj32E21rocsparse_complex_numIfEEEvi20rocsparse_direction_NS_24const_host_device_scalarIT1_EEPKiS8_PKS5_iiSA_S6_PS5_21rocsparse_index_base_b,@function
_ZN9rocsparseL23gebsrmvn_general_kernelILj512ELj32E21rocsparse_complex_numIfEEEvi20rocsparse_direction_NS_24const_host_device_scalarIT1_EEPKiS8_PKS5_iiSA_S6_PS5_21rocsparse_index_base_b: ; @_ZN9rocsparseL23gebsrmvn_general_kernelILj512ELj32E21rocsparse_complex_numIfEEEvi20rocsparse_direction_NS_24const_host_device_scalarIT1_EEPKiS8_PKS5_iiSA_S6_PS5_21rocsparse_index_base_b
; %bb.0:
	s_clause 0x2
	s_load_b64 s[8:9], s[0:1], 0x48
	s_load_b64 s[2:3], s[0:1], 0x8
	;; [unrolled: 1-line block ×3, first 2 shown]
	v_mov_b32_e32 v1, 0
	s_add_nc_u64 s[6:7], s[0:1], 8
	s_add_nc_u64 s[10:11], s[0:1], 56
	s_wait_kmcnt 0x0
	s_bitcmp1_b32 s9, 0
	s_cselect_b32 s3, s7, s3
	s_cselect_b32 s2, s6, s2
	;; [unrolled: 1-line block ×4, first 2 shown]
	s_clause 0x1
	flat_load_b64 v[2:3], v1, s[2:3]
	flat_load_b64 v[4:5], v1, s[4:5]
	s_wait_loadcnt_dscnt 0x101
	v_cmp_eq_f32_e32 vcc_lo, 0, v2
	v_cmp_eq_f32_e64 s2, 0, v3
	s_wait_loadcnt_dscnt 0x0
	v_cmp_eq_f32_e64 s3, 1.0, v4
	v_cmp_eq_f32_e64 s4, 0, v5
	s_and_b32 s2, vcc_lo, s2
	s_and_b32 s3, s3, s4
	s_delay_alu instid0(SALU_CYCLE_1) | instskip(NEXT) | instid1(SALU_CYCLE_1)
	s_and_b32 s2, s2, s3
	s_xor_b32 s2, s2, -1
	s_delay_alu instid0(SALU_CYCLE_1)
	s_and_saveexec_b32 s3, s2
	s_cbranch_execz .LBB77_20
; %bb.1:
	s_load_b64 s[10:11], s[0:1], 0x28
	v_lshrrev_b32_e32 v11, 5, v0
	s_wait_kmcnt 0x0
	s_delay_alu instid0(VALU_DEP_1)
	v_cmp_gt_i32_e32 vcc_lo, s10, v11
	s_and_b32 exec_lo, exec_lo, vcc_lo
	s_cbranch_execz .LBB77_20
; %bb.2:
	s_clause 0x1
	s_load_b128 s[4:7], s[0:1], 0x10
	s_load_b32 s20, s[0:1], 0x4
	s_bfe_u32 s2, ttmp6, 0x4000c
	s_and_b32 s3, ttmp6, 15
	s_add_co_i32 s2, s2, 1
	s_getreg_b32 s9, hwreg(HW_REG_IB_STS2, 6, 4)
	s_mul_i32 s2, ttmp9, s2
	v_and_b32_e32 v12, 31, v0
	s_add_co_i32 s3, s3, s2
	s_cmp_eq_u32 s9, 0
	v_mbcnt_lo_u32_b32 v0, -1, 0
	s_cselect_b32 s22, ttmp9, s3
	s_mov_b32 s9, 0
	s_ashr_i32 s23, s22, 31
	s_mul_i32 s21, s10, s22
	s_lshl_b64 s[2:3], s[22:23], 2
	v_xor_b32_e32 v7, 4, v0
	v_xor_b32_e32 v6, 8, v0
	;; [unrolled: 1-line block ×3, first 2 shown]
	s_mul_i32 s23, s11, s10
	s_wait_kmcnt 0x0
	s_add_nc_u64 s[2:3], s[4:5], s[2:3]
	s_load_b64 s[18:19], s[2:3], 0x0
	s_clause 0x2
	s_load_b64 s[4:5], s[0:1], 0x20
	s_load_b64 s[12:13], s[0:1], 0x30
	;; [unrolled: 1-line block ×3, first 2 shown]
	v_cmp_gt_i32_e32 vcc_lo, 32, v1
	s_wait_xcnt 0x0
	v_cmp_eq_f32_e64 s2, 0, v5
	v_cndmask_b32_e32 v1, v0, v1, vcc_lo
	v_cmp_gt_i32_e32 vcc_lo, 32, v6
	v_cmp_gt_i32_e64 s0, s11, v12
	v_cmp_eq_u32_e64 s1, 31, v12
	s_delay_alu instid0(VALU_DEP_4) | instskip(SKIP_2) | instid1(VALU_DEP_3)
	v_dual_cndmask_b32 v6, v0, v6 :: v_dual_lshlrev_b32 v13, 2, v1
	v_xor_b32_e32 v8, 2, v0
	v_cmp_gt_i32_e32 vcc_lo, 32, v7
	v_lshlrev_b32_e32 v14, 2, v6
	s_wait_kmcnt 0x0
	s_sub_co_i32 s16, s18, s8
	v_cndmask_b32_e32 v7, v0, v7, vcc_lo
	v_mad_u32 v1, s10, s16, v11
	v_xor_b32_e32 v9, 1, v0
	v_cmp_gt_i32_e32 vcc_lo, 32, v8
	s_sub_co_i32 s17, s19, s8
	v_lshlrev_b32_e32 v15, 2, v7
	s_cmp_lt_i32 s18, s19
	v_xor_b32_e32 v6, 0x80000000, v5
	v_cndmask_b32_e32 v8, v0, v8, vcc_lo
	v_cmp_gt_i32_e32 vcc_lo, 32, v9
	v_mov_b32_e32 v7, v4
	s_cselect_b32 s18, -1, 0
	v_mul_lo_u32 v18, s11, v1
	v_dual_mov_b32 v1, v2 :: v_dual_cndmask_b32 v0, v0, v9
	v_cmp_eq_f32_e32 vcc_lo, 0, v4
	v_lshlrev_b32_e32 v16, 2, v8
	s_cmp_lg_u32 s20, 0
	s_delay_alu instid0(VALU_DEP_3)
	v_lshlrev_b32_e32 v17, 2, v0
	v_xor_b32_e32 v0, 0x80000000, v3
	s_cselect_b32 s19, -1, 0
	s_and_b32 s20, vcc_lo, s2
	s_lshl_b32 s22, s11, 4
	s_branch .LBB77_4
.LBB77_3:                               ;   in Loop: Header=BB77_4 Depth=1
	s_wait_xcnt 0x0
	s_or_b32 exec_lo, exec_lo, s2
	v_dual_add_nc_u32 v11, 16, v11 :: v_dual_add_nc_u32 v18, s22, v18
	s_delay_alu instid0(VALU_DEP_1) | instskip(SKIP_1) | instid1(SALU_CYCLE_1)
	v_cmp_le_i32_e32 vcc_lo, s10, v11
	s_or_b32 s9, vcc_lo, s9
	s_and_not1_b32 exec_lo, exec_lo, s9
	s_cbranch_execz .LBB77_20
.LBB77_4:                               ; =>This Loop Header: Depth=1
                                        ;     Child Loop BB77_8 Depth 2
                                        ;       Child Loop BB77_11 Depth 3
	v_mov_b64_e32 v[8:9], 0
	s_and_not1_b32 vcc_lo, exec_lo, s18
	s_cbranch_vccnz .LBB77_15
; %bb.5:                                ;   in Loop: Header=BB77_4 Depth=1
	s_wait_dscnt 0x1
	v_mov_b32_e32 v10, v18
	s_mov_b32 s2, s16
	s_branch .LBB77_8
.LBB77_6:                               ;   in Loop: Header=BB77_8 Depth=2
	s_or_b32 exec_lo, exec_lo, s25
.LBB77_7:                               ;   in Loop: Header=BB77_8 Depth=2
	s_delay_alu instid0(SALU_CYCLE_1) | instskip(SKIP_2) | instid1(SALU_CYCLE_1)
	s_or_b32 exec_lo, exec_lo, s24
	v_add_nc_u32_e32 v10, s23, v10
	s_add_co_i32 s2, s2, 1
	s_cmp_ge_i32 s2, s17
	s_cbranch_scc1 .LBB77_15
.LBB77_8:                               ;   Parent Loop BB77_4 Depth=1
                                        ; =>  This Loop Header: Depth=2
                                        ;       Child Loop BB77_11 Depth 3
	s_and_saveexec_b32 s24, s0
	s_cbranch_execz .LBB77_7
; %bb.9:                                ;   in Loop: Header=BB77_8 Depth=2
	s_ashr_i32 s3, s2, 31
	s_wait_dscnt 0x0
	v_mov_b32_e32 v19, v12
	s_lshl_b64 s[26:27], s[2:3], 2
	s_mov_b32 s25, 0
	s_add_nc_u64 s[26:27], s[6:7], s[26:27]
	s_load_b32 s3, s[26:27], 0x0
	s_wait_kmcnt 0x0
	s_wait_xcnt 0x0
	s_sub_co_i32 s26, s3, s8
	s_mul_i32 s3, s2, s11
	s_mul_i32 s26, s26, s11
	s_branch .LBB77_11
.LBB77_10:                              ;   in Loop: Header=BB77_11 Depth=3
	v_dual_add_nc_u32 v21, s26, v19 :: v_dual_add_nc_u32 v19, 32, v19
	global_load_b64 v[22:23], v21, s[12:13] scale_offset
	global_load_b64 v[24:25], v20, s[4:5] scale_offset
	v_cmp_le_i32_e32 vcc_lo, s11, v19
	s_or_b32 s25, vcc_lo, s25
	s_wait_loadcnt 0x0
	v_pk_fma_f32 v[8:9], v[24:25], v[22:23], v[8:9] op_sel_hi:[1,0,1]
	s_delay_alu instid0(VALU_DEP_1)
	v_pk_fma_f32 v[8:9], v[24:25], v[22:23], v[8:9] op_sel:[1,1,0] op_sel_hi:[0,1,1] neg_lo:[1,0,0]
	s_wait_xcnt 0x0
	s_and_not1_b32 exec_lo, exec_lo, s25
	s_cbranch_execz .LBB77_6
.LBB77_11:                              ;   Parent Loop BB77_4 Depth=1
                                        ;     Parent Loop BB77_8 Depth=2
                                        ; =>    This Inner Loop Header: Depth=3
	s_and_b32 vcc_lo, exec_lo, s19
	s_cbranch_vccz .LBB77_13
; %bb.12:                               ;   in Loop: Header=BB77_11 Depth=3
	v_add_nc_u32_e32 v20, s3, v19
	s_delay_alu instid0(VALU_DEP_1)
	v_mad_u32 v20, v20, s10, v11
	s_cbranch_execnz .LBB77_10
	s_branch .LBB77_14
.LBB77_13:                              ;   in Loop: Header=BB77_11 Depth=3
                                        ; implicit-def: $vgpr20
.LBB77_14:                              ;   in Loop: Header=BB77_11 Depth=3
	v_add_nc_u32_e32 v20, v10, v19
	s_branch .LBB77_10
.LBB77_15:                              ;   in Loop: Header=BB77_4 Depth=1
	s_wait_dscnt 0x1
	ds_bpermute_b32 v10, v13, v8
	s_wait_dscnt 0x1
	ds_bpermute_b32 v19, v13, v9
	s_wait_dscnt 0x0
	v_dual_add_f32 v8, v8, v10 :: v_dual_add_f32 v9, v9, v19
	ds_bpermute_b32 v10, v14, v8
	ds_bpermute_b32 v19, v14, v9
	s_wait_dscnt 0x0
	v_dual_add_f32 v8, v8, v10 :: v_dual_add_f32 v9, v9, v19
	ds_bpermute_b32 v10, v15, v8
	;; [unrolled: 4-line block ×4, first 2 shown]
	ds_bpermute_b32 v19, v17, v9
	s_and_saveexec_b32 s2, s1
	s_cbranch_execz .LBB77_3
; %bb.16:                               ;   in Loop: Header=BB77_4 Depth=1
	s_wait_dscnt 0x0
	v_dual_add_f32 v8, v8, v10 :: v_dual_add_f32 v10, v9, v19
	v_add_nc_u32_e32 v9, s21, v11
	s_and_saveexec_b32 s3, s20
	s_delay_alu instid0(SALU_CYCLE_1)
	s_xor_b32 s3, exec_lo, s3
	s_cbranch_execz .LBB77_18
; %bb.17:                               ;   in Loop: Header=BB77_4 Depth=1
	v_pk_mul_f32 v[20:21], v[10:11], v[0:1] op_sel_hi:[0,1]
                                        ; implicit-def: $vgpr10
	s_delay_alu instid0(VALU_DEP_1)
	v_pk_fma_f32 v[20:21], v[2:3], v[8:9], v[20:21] op_sel_hi:[1,0,1]
                                        ; implicit-def: $vgpr8
	global_store_b64 v9, v[20:21], s[14:15] scale_offset
                                        ; implicit-def: $vgpr9
.LBB77_18:                              ;   in Loop: Header=BB77_4 Depth=1
	s_wait_xcnt 0x0
	s_and_not1_saveexec_b32 s3, s3
	s_cbranch_execz .LBB77_3
; %bb.19:                               ;   in Loop: Header=BB77_4 Depth=1
	global_load_b64 v[20:21], v9, s[14:15] scale_offset
	v_pk_mul_f32 v[22:23], v[10:11], v[0:1] op_sel_hi:[0,1]
	s_delay_alu instid0(VALU_DEP_1) | instskip(SKIP_1) | instid1(VALU_DEP_1)
	v_pk_fma_f32 v[22:23], v[2:3], v[8:9], v[22:23] op_sel_hi:[1,0,1]
	s_wait_loadcnt 0x0
	v_pk_fma_f32 v[22:23], v[4:5], v[20:21], v[22:23] op_sel_hi:[1,0,1]
	s_delay_alu instid0(VALU_DEP_1)
	v_pk_fma_f32 v[20:21], v[6:7], v[20:21], v[22:23] op_sel:[0,1,0]
	global_store_b64 v9, v[20:21], s[14:15] scale_offset
	s_branch .LBB77_3
.LBB77_20:
	s_endpgm
	.section	.rodata,"a",@progbits
	.p2align	6, 0x0
	.amdhsa_kernel _ZN9rocsparseL23gebsrmvn_general_kernelILj512ELj32E21rocsparse_complex_numIfEEEvi20rocsparse_direction_NS_24const_host_device_scalarIT1_EEPKiS8_PKS5_iiSA_S6_PS5_21rocsparse_index_base_b
		.amdhsa_group_segment_fixed_size 0
		.amdhsa_private_segment_fixed_size 0
		.amdhsa_kernarg_size 80
		.amdhsa_user_sgpr_count 2
		.amdhsa_user_sgpr_dispatch_ptr 0
		.amdhsa_user_sgpr_queue_ptr 0
		.amdhsa_user_sgpr_kernarg_segment_ptr 1
		.amdhsa_user_sgpr_dispatch_id 0
		.amdhsa_user_sgpr_kernarg_preload_length 0
		.amdhsa_user_sgpr_kernarg_preload_offset 0
		.amdhsa_user_sgpr_private_segment_size 0
		.amdhsa_wavefront_size32 1
		.amdhsa_uses_dynamic_stack 0
		.amdhsa_enable_private_segment 0
		.amdhsa_system_sgpr_workgroup_id_x 1
		.amdhsa_system_sgpr_workgroup_id_y 0
		.amdhsa_system_sgpr_workgroup_id_z 0
		.amdhsa_system_sgpr_workgroup_info 0
		.amdhsa_system_vgpr_workitem_id 0
		.amdhsa_next_free_vgpr 26
		.amdhsa_next_free_sgpr 28
		.amdhsa_named_barrier_count 0
		.amdhsa_reserve_vcc 1
		.amdhsa_float_round_mode_32 0
		.amdhsa_float_round_mode_16_64 0
		.amdhsa_float_denorm_mode_32 3
		.amdhsa_float_denorm_mode_16_64 3
		.amdhsa_fp16_overflow 0
		.amdhsa_memory_ordered 1
		.amdhsa_forward_progress 1
		.amdhsa_inst_pref_size 9
		.amdhsa_round_robin_scheduling 0
		.amdhsa_exception_fp_ieee_invalid_op 0
		.amdhsa_exception_fp_denorm_src 0
		.amdhsa_exception_fp_ieee_div_zero 0
		.amdhsa_exception_fp_ieee_overflow 0
		.amdhsa_exception_fp_ieee_underflow 0
		.amdhsa_exception_fp_ieee_inexact 0
		.amdhsa_exception_int_div_zero 0
	.end_amdhsa_kernel
	.section	.text._ZN9rocsparseL23gebsrmvn_general_kernelILj512ELj32E21rocsparse_complex_numIfEEEvi20rocsparse_direction_NS_24const_host_device_scalarIT1_EEPKiS8_PKS5_iiSA_S6_PS5_21rocsparse_index_base_b,"axG",@progbits,_ZN9rocsparseL23gebsrmvn_general_kernelILj512ELj32E21rocsparse_complex_numIfEEEvi20rocsparse_direction_NS_24const_host_device_scalarIT1_EEPKiS8_PKS5_iiSA_S6_PS5_21rocsparse_index_base_b,comdat
.Lfunc_end77:
	.size	_ZN9rocsparseL23gebsrmvn_general_kernelILj512ELj32E21rocsparse_complex_numIfEEEvi20rocsparse_direction_NS_24const_host_device_scalarIT1_EEPKiS8_PKS5_iiSA_S6_PS5_21rocsparse_index_base_b, .Lfunc_end77-_ZN9rocsparseL23gebsrmvn_general_kernelILj512ELj32E21rocsparse_complex_numIfEEEvi20rocsparse_direction_NS_24const_host_device_scalarIT1_EEPKiS8_PKS5_iiSA_S6_PS5_21rocsparse_index_base_b
                                        ; -- End function
	.set _ZN9rocsparseL23gebsrmvn_general_kernelILj512ELj32E21rocsparse_complex_numIfEEEvi20rocsparse_direction_NS_24const_host_device_scalarIT1_EEPKiS8_PKS5_iiSA_S6_PS5_21rocsparse_index_base_b.num_vgpr, 26
	.set _ZN9rocsparseL23gebsrmvn_general_kernelILj512ELj32E21rocsparse_complex_numIfEEEvi20rocsparse_direction_NS_24const_host_device_scalarIT1_EEPKiS8_PKS5_iiSA_S6_PS5_21rocsparse_index_base_b.num_agpr, 0
	.set _ZN9rocsparseL23gebsrmvn_general_kernelILj512ELj32E21rocsparse_complex_numIfEEEvi20rocsparse_direction_NS_24const_host_device_scalarIT1_EEPKiS8_PKS5_iiSA_S6_PS5_21rocsparse_index_base_b.numbered_sgpr, 28
	.set _ZN9rocsparseL23gebsrmvn_general_kernelILj512ELj32E21rocsparse_complex_numIfEEEvi20rocsparse_direction_NS_24const_host_device_scalarIT1_EEPKiS8_PKS5_iiSA_S6_PS5_21rocsparse_index_base_b.num_named_barrier, 0
	.set _ZN9rocsparseL23gebsrmvn_general_kernelILj512ELj32E21rocsparse_complex_numIfEEEvi20rocsparse_direction_NS_24const_host_device_scalarIT1_EEPKiS8_PKS5_iiSA_S6_PS5_21rocsparse_index_base_b.private_seg_size, 0
	.set _ZN9rocsparseL23gebsrmvn_general_kernelILj512ELj32E21rocsparse_complex_numIfEEEvi20rocsparse_direction_NS_24const_host_device_scalarIT1_EEPKiS8_PKS5_iiSA_S6_PS5_21rocsparse_index_base_b.uses_vcc, 1
	.set _ZN9rocsparseL23gebsrmvn_general_kernelILj512ELj32E21rocsparse_complex_numIfEEEvi20rocsparse_direction_NS_24const_host_device_scalarIT1_EEPKiS8_PKS5_iiSA_S6_PS5_21rocsparse_index_base_b.uses_flat_scratch, 1
	.set _ZN9rocsparseL23gebsrmvn_general_kernelILj512ELj32E21rocsparse_complex_numIfEEEvi20rocsparse_direction_NS_24const_host_device_scalarIT1_EEPKiS8_PKS5_iiSA_S6_PS5_21rocsparse_index_base_b.has_dyn_sized_stack, 0
	.set _ZN9rocsparseL23gebsrmvn_general_kernelILj512ELj32E21rocsparse_complex_numIfEEEvi20rocsparse_direction_NS_24const_host_device_scalarIT1_EEPKiS8_PKS5_iiSA_S6_PS5_21rocsparse_index_base_b.has_recursion, 0
	.set _ZN9rocsparseL23gebsrmvn_general_kernelILj512ELj32E21rocsparse_complex_numIfEEEvi20rocsparse_direction_NS_24const_host_device_scalarIT1_EEPKiS8_PKS5_iiSA_S6_PS5_21rocsparse_index_base_b.has_indirect_call, 0
	.section	.AMDGPU.csdata,"",@progbits
; Kernel info:
; codeLenInByte = 1104
; TotalNumSgprs: 30
; NumVgprs: 26
; ScratchSize: 0
; MemoryBound: 0
; FloatMode: 240
; IeeeMode: 1
; LDSByteSize: 0 bytes/workgroup (compile time only)
; SGPRBlocks: 0
; VGPRBlocks: 1
; NumSGPRsForWavesPerEU: 30
; NumVGPRsForWavesPerEU: 26
; NamedBarCnt: 0
; Occupancy: 16
; WaveLimiterHint : 1
; COMPUTE_PGM_RSRC2:SCRATCH_EN: 0
; COMPUTE_PGM_RSRC2:USER_SGPR: 2
; COMPUTE_PGM_RSRC2:TRAP_HANDLER: 0
; COMPUTE_PGM_RSRC2:TGID_X_EN: 1
; COMPUTE_PGM_RSRC2:TGID_Y_EN: 0
; COMPUTE_PGM_RSRC2:TGID_Z_EN: 0
; COMPUTE_PGM_RSRC2:TIDIG_COMP_CNT: 0
	.section	.text._ZN9rocsparseL22gebsrmvn_mxn_16_kernelILj56ELj14ELj1E21rocsparse_complex_numIfEEEvi20rocsparse_direction_NS_24const_host_device_scalarIT2_EEPKiS8_PKS5_iiSA_S6_PS5_21rocsparse_index_base_b,"axG",@progbits,_ZN9rocsparseL22gebsrmvn_mxn_16_kernelILj56ELj14ELj1E21rocsparse_complex_numIfEEEvi20rocsparse_direction_NS_24const_host_device_scalarIT2_EEPKiS8_PKS5_iiSA_S6_PS5_21rocsparse_index_base_b,comdat
	.globl	_ZN9rocsparseL22gebsrmvn_mxn_16_kernelILj56ELj14ELj1E21rocsparse_complex_numIfEEEvi20rocsparse_direction_NS_24const_host_device_scalarIT2_EEPKiS8_PKS5_iiSA_S6_PS5_21rocsparse_index_base_b ; -- Begin function _ZN9rocsparseL22gebsrmvn_mxn_16_kernelILj56ELj14ELj1E21rocsparse_complex_numIfEEEvi20rocsparse_direction_NS_24const_host_device_scalarIT2_EEPKiS8_PKS5_iiSA_S6_PS5_21rocsparse_index_base_b
	.p2align	8
	.type	_ZN9rocsparseL22gebsrmvn_mxn_16_kernelILj56ELj14ELj1E21rocsparse_complex_numIfEEEvi20rocsparse_direction_NS_24const_host_device_scalarIT2_EEPKiS8_PKS5_iiSA_S6_PS5_21rocsparse_index_base_b,@function
_ZN9rocsparseL22gebsrmvn_mxn_16_kernelILj56ELj14ELj1E21rocsparse_complex_numIfEEEvi20rocsparse_direction_NS_24const_host_device_scalarIT2_EEPKiS8_PKS5_iiSA_S6_PS5_21rocsparse_index_base_b: ; @_ZN9rocsparseL22gebsrmvn_mxn_16_kernelILj56ELj14ELj1E21rocsparse_complex_numIfEEEvi20rocsparse_direction_NS_24const_host_device_scalarIT2_EEPKiS8_PKS5_iiSA_S6_PS5_21rocsparse_index_base_b
; %bb.0:
	s_clause 0x2
	s_load_b64 s[10:11], s[0:1], 0x48
	s_load_b64 s[2:3], s[0:1], 0x8
	;; [unrolled: 1-line block ×3, first 2 shown]
	v_mov_b32_e32 v1, 0
	s_add_nc_u64 s[6:7], s[0:1], 8
	s_add_nc_u64 s[8:9], s[0:1], 56
	s_wait_kmcnt 0x0
	s_bitcmp1_b32 s11, 0
	s_cselect_b32 s3, s7, s3
	s_cselect_b32 s2, s6, s2
	;; [unrolled: 1-line block ×4, first 2 shown]
	s_clause 0x1
	flat_load_b64 v[2:3], v1, s[2:3]
	flat_load_b64 v[4:5], v1, s[4:5]
	s_wait_loadcnt_dscnt 0x101
	v_cmp_eq_f32_e32 vcc_lo, 0, v2
	v_cmp_eq_f32_e64 s2, 0, v3
	s_wait_loadcnt_dscnt 0x0
	v_cmp_eq_f32_e64 s3, 1.0, v4
	v_cmp_eq_f32_e64 s4, 0, v5
	s_and_b32 s2, vcc_lo, s2
	s_and_b32 s3, s3, s4
	s_mov_b32 s4, -1
	s_and_b32 s2, s2, s3
	s_delay_alu instid0(SALU_CYCLE_1) | instskip(NEXT) | instid1(SALU_CYCLE_1)
	s_xor_b32 s2, s2, -1
	s_and_saveexec_b32 s3, s2
	s_cbranch_execz .LBB78_17
; %bb.1:
	s_load_b64 s[2:3], s[0:1], 0x10
	s_bfe_u32 s5, ttmp6, 0x4000c
	s_and_b32 s6, ttmp6, 15
	s_add_co_i32 s5, s5, 1
	s_getreg_b32 s7, hwreg(HW_REG_IB_STS2, 6, 4)
	s_mul_i32 s5, ttmp9, s5
	s_delay_alu instid0(SALU_CYCLE_1) | instskip(SKIP_2) | instid1(SALU_CYCLE_1)
	s_add_co_i32 s6, s6, s5
	s_cmp_eq_u32 s7, 0
	s_cselect_b32 s8, ttmp9, s6
	s_ashr_i32 s9, s8, 31
	s_delay_alu instid0(SALU_CYCLE_1)
	s_lshl_b64 s[6:7], s[8:9], 2
	s_wait_kmcnt 0x0
	s_add_nc_u64 s[2:3], s[2:3], s[6:7]
	s_load_b64 s[14:15], s[2:3], 0x0
	s_wait_kmcnt 0x0
	s_cmp_lt_i32 s14, s15
	s_cbranch_scc1 .LBB78_3
; %bb.2:
	s_mov_b32 s4, 0
.LBB78_3:
	s_load_b64 s[2:3], s[0:1], 0x40
	v_mov_b32_e32 v7, 0
	s_and_not1_b32 vcc_lo, exec_lo, s4
	s_delay_alu instid0(VALU_DEP_1)
	v_mov_b32_e32 v6, v7
	s_cbranch_vccnz .LBB78_8
; %bb.4:
	s_clause 0x1
	s_load_b128 s[4:7], s[0:1], 0x18
	s_load_b64 s[12:13], s[0:1], 0x30
	v_mad_u32 v7, s14, 14, v0
	v_mul_u32_u24_e32 v1, 0x124a, v0
	v_mov_b32_e32 v6, 0
	s_wait_xcnt 0x0
	s_mul_i32 s0, s10, 14
	s_sub_co_i32 s1, s14, s10
	v_lshrrev_b32_e32 v1, 16, v1
	s_delay_alu instid0(VALU_DEP_4)
	v_subrev_nc_u32_e32 v8, s0, v7
	v_mov_b32_e32 v7, v6
	s_sub_co_i32 s0, s15, s10
	s_branch .LBB78_6
.LBB78_5:                               ;   in Loop: Header=BB78_6 Depth=1
	s_or_b32 exec_lo, exec_lo, s9
	v_add_nc_u32_e32 v8, 56, v8
	s_add_co_i32 s1, s1, 4
	s_delay_alu instid0(SALU_CYCLE_1)
	s_cmp_ge_i32 s1, s0
	s_cbranch_scc1 .LBB78_8
.LBB78_6:                               ; =>This Inner Loop Header: Depth=1
	v_add_nc_u32_e32 v9, s1, v1
	s_mov_b32 s9, exec_lo
	s_delay_alu instid0(VALU_DEP_1)
	v_cmpx_gt_i32_e64 s0, v9
	s_cbranch_execz .LBB78_5
; %bb.7:                                ;   in Loop: Header=BB78_6 Depth=1
	s_wait_kmcnt 0x0
	global_load_b32 v9, v9, s[4:5] scale_offset
	s_wait_loadcnt 0x0
	v_subrev_nc_u32_e32 v9, s10, v9
	global_load_b64 v[10:11], v9, s[12:13] scale_offset
	global_load_b64 v[12:13], v8, s[6:7] scale_offset
	s_wait_loadcnt 0x0
	v_pk_fma_f32 v[6:7], v[12:13], v[10:11], v[6:7] op_sel_hi:[1,0,1]
	s_delay_alu instid0(VALU_DEP_1)
	v_pk_fma_f32 v[6:7], v[12:13], v[10:11], v[6:7] op_sel:[1,1,0] op_sel_hi:[0,1,1] neg_lo:[1,0,0]
	s_branch .LBB78_5
.LBB78_8:
	v_lshlrev_b32_e32 v1, 3, v0
	s_wait_xcnt 0x0
	s_mov_b32 s0, exec_lo
	ds_store_b64 v1, v[6:7]
	s_wait_dscnt 0x0
	s_barrier_signal -1
	s_barrier_wait -1
	v_cmpx_gt_u32_e32 28, v0
	s_cbranch_execz .LBB78_10
; %bb.9:
	ds_load_2addr_b64 v[6:9], v1 offset1:28
	s_wait_dscnt 0x0
	v_pk_add_f32 v[6:7], v[8:9], v[6:7]
	ds_store_b64 v1, v[6:7]
.LBB78_10:
	s_or_b32 exec_lo, exec_lo, s0
	v_cmp_gt_u32_e32 vcc_lo, 14, v0
	s_wait_dscnt 0x0
	s_barrier_signal -1
	s_barrier_wait -1
	s_and_saveexec_b32 s0, vcc_lo
	s_cbranch_execz .LBB78_12
; %bb.11:
	ds_load_2addr_b64 v[6:9], v1 offset1:14
	s_wait_dscnt 0x0
	v_pk_add_f32 v[6:7], v[8:9], v[6:7]
	ds_store_b64 v1, v[6:7]
.LBB78_12:
	s_or_b32 exec_lo, exec_lo, s0
	s_wait_dscnt 0x0
	s_barrier_signal -1
	s_barrier_wait -1
	s_and_b32 exec_lo, exec_lo, vcc_lo
	s_cbranch_execz .LBB78_17
; %bb.13:
	ds_load_b64 v[6:7], v1
	v_mad_u32 v8, s8, 14, v0
	v_cmp_eq_f32_e32 vcc_lo, 0, v4
	v_cmp_eq_f32_e64 s0, 0, v5
	v_xor_b32_e32 v0, 0x80000000, v3
	s_and_b32 s0, vcc_lo, s0
	s_delay_alu instid0(SALU_CYCLE_1) | instskip(NEXT) | instid1(SALU_CYCLE_1)
	s_and_saveexec_b32 s1, s0
	s_xor_b32 s0, exec_lo, s1
	s_cbranch_execz .LBB78_15
; %bb.14:
	s_wait_dscnt 0x0
	v_dual_mov_b32 v4, v7 :: v_dual_mov_b32 v1, v2
	s_delay_alu instid0(VALU_DEP_1) | instskip(NEXT) | instid1(VALU_DEP_1)
	v_pk_mul_f32 v[0:1], v[4:5], v[0:1] op_sel_hi:[0,1]
                                        ; implicit-def: $vgpr4_vgpr5
	v_pk_fma_f32 v[0:1], v[2:3], v[6:7], v[0:1] op_sel_hi:[1,0,1]
                                        ; implicit-def: $vgpr7
                                        ; implicit-def: $vgpr2_vgpr3
	s_wait_kmcnt 0x0
	global_store_b64 v8, v[0:1], s[2:3] scale_offset
                                        ; implicit-def: $vgpr8
                                        ; implicit-def: $vgpr0
.LBB78_15:
	s_wait_xcnt 0x0
	s_and_not1_saveexec_b32 s0, s0
	s_cbranch_execz .LBB78_17
; %bb.16:
	s_wait_kmcnt 0x0
	global_load_b64 v[10:11], v8, s[2:3] scale_offset
	s_wait_dscnt 0x0
	v_dual_mov_b32 v12, v7 :: v_dual_mov_b32 v1, v2
	s_delay_alu instid0(VALU_DEP_1) | instskip(NEXT) | instid1(VALU_DEP_1)
	v_pk_mul_f32 v[0:1], v[12:13], v[0:1] op_sel_hi:[0,1]
	v_pk_fma_f32 v[0:1], v[2:3], v[6:7], v[0:1] op_sel_hi:[1,0,1]
	v_xor_b32_e32 v2, 0x80000000, v5
	v_mov_b32_e32 v3, v4
	s_wait_loadcnt 0x0
	s_delay_alu instid0(VALU_DEP_3) | instskip(NEXT) | instid1(VALU_DEP_1)
	v_pk_fma_f32 v[0:1], v[4:5], v[10:11], v[0:1] op_sel_hi:[1,0,1]
	v_pk_fma_f32 v[0:1], v[2:3], v[10:11], v[0:1] op_sel:[0,1,0]
	global_store_b64 v8, v[0:1], s[2:3] scale_offset
.LBB78_17:
	s_endpgm
	.section	.rodata,"a",@progbits
	.p2align	6, 0x0
	.amdhsa_kernel _ZN9rocsparseL22gebsrmvn_mxn_16_kernelILj56ELj14ELj1E21rocsparse_complex_numIfEEEvi20rocsparse_direction_NS_24const_host_device_scalarIT2_EEPKiS8_PKS5_iiSA_S6_PS5_21rocsparse_index_base_b
		.amdhsa_group_segment_fixed_size 448
		.amdhsa_private_segment_fixed_size 0
		.amdhsa_kernarg_size 80
		.amdhsa_user_sgpr_count 2
		.amdhsa_user_sgpr_dispatch_ptr 0
		.amdhsa_user_sgpr_queue_ptr 0
		.amdhsa_user_sgpr_kernarg_segment_ptr 1
		.amdhsa_user_sgpr_dispatch_id 0
		.amdhsa_user_sgpr_kernarg_preload_length 0
		.amdhsa_user_sgpr_kernarg_preload_offset 0
		.amdhsa_user_sgpr_private_segment_size 0
		.amdhsa_wavefront_size32 1
		.amdhsa_uses_dynamic_stack 0
		.amdhsa_enable_private_segment 0
		.amdhsa_system_sgpr_workgroup_id_x 1
		.amdhsa_system_sgpr_workgroup_id_y 0
		.amdhsa_system_sgpr_workgroup_id_z 0
		.amdhsa_system_sgpr_workgroup_info 0
		.amdhsa_system_vgpr_workitem_id 0
		.amdhsa_next_free_vgpr 14
		.amdhsa_next_free_sgpr 16
		.amdhsa_named_barrier_count 0
		.amdhsa_reserve_vcc 1
		.amdhsa_float_round_mode_32 0
		.amdhsa_float_round_mode_16_64 0
		.amdhsa_float_denorm_mode_32 3
		.amdhsa_float_denorm_mode_16_64 3
		.amdhsa_fp16_overflow 0
		.amdhsa_memory_ordered 1
		.amdhsa_forward_progress 1
		.amdhsa_inst_pref_size 7
		.amdhsa_round_robin_scheduling 0
		.amdhsa_exception_fp_ieee_invalid_op 0
		.amdhsa_exception_fp_denorm_src 0
		.amdhsa_exception_fp_ieee_div_zero 0
		.amdhsa_exception_fp_ieee_overflow 0
		.amdhsa_exception_fp_ieee_underflow 0
		.amdhsa_exception_fp_ieee_inexact 0
		.amdhsa_exception_int_div_zero 0
	.end_amdhsa_kernel
	.section	.text._ZN9rocsparseL22gebsrmvn_mxn_16_kernelILj56ELj14ELj1E21rocsparse_complex_numIfEEEvi20rocsparse_direction_NS_24const_host_device_scalarIT2_EEPKiS8_PKS5_iiSA_S6_PS5_21rocsparse_index_base_b,"axG",@progbits,_ZN9rocsparseL22gebsrmvn_mxn_16_kernelILj56ELj14ELj1E21rocsparse_complex_numIfEEEvi20rocsparse_direction_NS_24const_host_device_scalarIT2_EEPKiS8_PKS5_iiSA_S6_PS5_21rocsparse_index_base_b,comdat
.Lfunc_end78:
	.size	_ZN9rocsparseL22gebsrmvn_mxn_16_kernelILj56ELj14ELj1E21rocsparse_complex_numIfEEEvi20rocsparse_direction_NS_24const_host_device_scalarIT2_EEPKiS8_PKS5_iiSA_S6_PS5_21rocsparse_index_base_b, .Lfunc_end78-_ZN9rocsparseL22gebsrmvn_mxn_16_kernelILj56ELj14ELj1E21rocsparse_complex_numIfEEEvi20rocsparse_direction_NS_24const_host_device_scalarIT2_EEPKiS8_PKS5_iiSA_S6_PS5_21rocsparse_index_base_b
                                        ; -- End function
	.set _ZN9rocsparseL22gebsrmvn_mxn_16_kernelILj56ELj14ELj1E21rocsparse_complex_numIfEEEvi20rocsparse_direction_NS_24const_host_device_scalarIT2_EEPKiS8_PKS5_iiSA_S6_PS5_21rocsparse_index_base_b.num_vgpr, 14
	.set _ZN9rocsparseL22gebsrmvn_mxn_16_kernelILj56ELj14ELj1E21rocsparse_complex_numIfEEEvi20rocsparse_direction_NS_24const_host_device_scalarIT2_EEPKiS8_PKS5_iiSA_S6_PS5_21rocsparse_index_base_b.num_agpr, 0
	.set _ZN9rocsparseL22gebsrmvn_mxn_16_kernelILj56ELj14ELj1E21rocsparse_complex_numIfEEEvi20rocsparse_direction_NS_24const_host_device_scalarIT2_EEPKiS8_PKS5_iiSA_S6_PS5_21rocsparse_index_base_b.numbered_sgpr, 16
	.set _ZN9rocsparseL22gebsrmvn_mxn_16_kernelILj56ELj14ELj1E21rocsparse_complex_numIfEEEvi20rocsparse_direction_NS_24const_host_device_scalarIT2_EEPKiS8_PKS5_iiSA_S6_PS5_21rocsparse_index_base_b.num_named_barrier, 0
	.set _ZN9rocsparseL22gebsrmvn_mxn_16_kernelILj56ELj14ELj1E21rocsparse_complex_numIfEEEvi20rocsparse_direction_NS_24const_host_device_scalarIT2_EEPKiS8_PKS5_iiSA_S6_PS5_21rocsparse_index_base_b.private_seg_size, 0
	.set _ZN9rocsparseL22gebsrmvn_mxn_16_kernelILj56ELj14ELj1E21rocsparse_complex_numIfEEEvi20rocsparse_direction_NS_24const_host_device_scalarIT2_EEPKiS8_PKS5_iiSA_S6_PS5_21rocsparse_index_base_b.uses_vcc, 1
	.set _ZN9rocsparseL22gebsrmvn_mxn_16_kernelILj56ELj14ELj1E21rocsparse_complex_numIfEEEvi20rocsparse_direction_NS_24const_host_device_scalarIT2_EEPKiS8_PKS5_iiSA_S6_PS5_21rocsparse_index_base_b.uses_flat_scratch, 1
	.set _ZN9rocsparseL22gebsrmvn_mxn_16_kernelILj56ELj14ELj1E21rocsparse_complex_numIfEEEvi20rocsparse_direction_NS_24const_host_device_scalarIT2_EEPKiS8_PKS5_iiSA_S6_PS5_21rocsparse_index_base_b.has_dyn_sized_stack, 0
	.set _ZN9rocsparseL22gebsrmvn_mxn_16_kernelILj56ELj14ELj1E21rocsparse_complex_numIfEEEvi20rocsparse_direction_NS_24const_host_device_scalarIT2_EEPKiS8_PKS5_iiSA_S6_PS5_21rocsparse_index_base_b.has_recursion, 0
	.set _ZN9rocsparseL22gebsrmvn_mxn_16_kernelILj56ELj14ELj1E21rocsparse_complex_numIfEEEvi20rocsparse_direction_NS_24const_host_device_scalarIT2_EEPKiS8_PKS5_iiSA_S6_PS5_21rocsparse_index_base_b.has_indirect_call, 0
	.section	.AMDGPU.csdata,"",@progbits
; Kernel info:
; codeLenInByte = 844
; TotalNumSgprs: 18
; NumVgprs: 14
; ScratchSize: 0
; MemoryBound: 0
; FloatMode: 240
; IeeeMode: 1
; LDSByteSize: 448 bytes/workgroup (compile time only)
; SGPRBlocks: 0
; VGPRBlocks: 0
; NumSGPRsForWavesPerEU: 18
; NumVGPRsForWavesPerEU: 14
; NamedBarCnt: 0
; Occupancy: 16
; WaveLimiterHint : 1
; COMPUTE_PGM_RSRC2:SCRATCH_EN: 0
; COMPUTE_PGM_RSRC2:USER_SGPR: 2
; COMPUTE_PGM_RSRC2:TRAP_HANDLER: 0
; COMPUTE_PGM_RSRC2:TGID_X_EN: 1
; COMPUTE_PGM_RSRC2:TGID_Y_EN: 0
; COMPUTE_PGM_RSRC2:TGID_Z_EN: 0
; COMPUTE_PGM_RSRC2:TIDIG_COMP_CNT: 0
	.section	.text._ZN9rocsparseL22gebsrmvn_mxn_16_kernelILj56ELj14ELj2E21rocsparse_complex_numIfEEEvi20rocsparse_direction_NS_24const_host_device_scalarIT2_EEPKiS8_PKS5_iiSA_S6_PS5_21rocsparse_index_base_b,"axG",@progbits,_ZN9rocsparseL22gebsrmvn_mxn_16_kernelILj56ELj14ELj2E21rocsparse_complex_numIfEEEvi20rocsparse_direction_NS_24const_host_device_scalarIT2_EEPKiS8_PKS5_iiSA_S6_PS5_21rocsparse_index_base_b,comdat
	.globl	_ZN9rocsparseL22gebsrmvn_mxn_16_kernelILj56ELj14ELj2E21rocsparse_complex_numIfEEEvi20rocsparse_direction_NS_24const_host_device_scalarIT2_EEPKiS8_PKS5_iiSA_S6_PS5_21rocsparse_index_base_b ; -- Begin function _ZN9rocsparseL22gebsrmvn_mxn_16_kernelILj56ELj14ELj2E21rocsparse_complex_numIfEEEvi20rocsparse_direction_NS_24const_host_device_scalarIT2_EEPKiS8_PKS5_iiSA_S6_PS5_21rocsparse_index_base_b
	.p2align	8
	.type	_ZN9rocsparseL22gebsrmvn_mxn_16_kernelILj56ELj14ELj2E21rocsparse_complex_numIfEEEvi20rocsparse_direction_NS_24const_host_device_scalarIT2_EEPKiS8_PKS5_iiSA_S6_PS5_21rocsparse_index_base_b,@function
_ZN9rocsparseL22gebsrmvn_mxn_16_kernelILj56ELj14ELj2E21rocsparse_complex_numIfEEEvi20rocsparse_direction_NS_24const_host_device_scalarIT2_EEPKiS8_PKS5_iiSA_S6_PS5_21rocsparse_index_base_b: ; @_ZN9rocsparseL22gebsrmvn_mxn_16_kernelILj56ELj14ELj2E21rocsparse_complex_numIfEEEvi20rocsparse_direction_NS_24const_host_device_scalarIT2_EEPKiS8_PKS5_iiSA_S6_PS5_21rocsparse_index_base_b
; %bb.0:
	s_clause 0x2
	s_load_b64 s[10:11], s[0:1], 0x48
	s_load_b64 s[2:3], s[0:1], 0x8
	;; [unrolled: 1-line block ×3, first 2 shown]
	v_mov_b32_e32 v1, 0
	s_add_nc_u64 s[6:7], s[0:1], 8
	s_add_nc_u64 s[8:9], s[0:1], 56
	s_wait_kmcnt 0x0
	s_bitcmp1_b32 s11, 0
	s_cselect_b32 s3, s7, s3
	s_cselect_b32 s2, s6, s2
	;; [unrolled: 1-line block ×4, first 2 shown]
	s_clause 0x1
	flat_load_b64 v[2:3], v1, s[2:3]
	flat_load_b64 v[4:5], v1, s[4:5]
	s_wait_loadcnt_dscnt 0x101
	v_cmp_eq_f32_e32 vcc_lo, 0, v2
	v_cmp_eq_f32_e64 s2, 0, v3
	s_wait_loadcnt_dscnt 0x0
	v_cmp_eq_f32_e64 s3, 1.0, v4
	v_cmp_eq_f32_e64 s4, 0, v5
	s_and_b32 s2, vcc_lo, s2
	s_and_b32 s3, s3, s4
	s_delay_alu instid0(SALU_CYCLE_1) | instskip(NEXT) | instid1(SALU_CYCLE_1)
	s_and_b32 s2, s2, s3
	s_xor_b32 s2, s2, -1
	s_delay_alu instid0(SALU_CYCLE_1)
	s_and_saveexec_b32 s3, s2
	s_cbranch_execz .LBB79_28
; %bb.1:
	s_clause 0x1
	s_load_b32 s4, s[0:1], 0x4
	s_load_b64 s[2:3], s[0:1], 0x10
	v_and_b32_e32 v1, 1, v0
	s_delay_alu instid0(VALU_DEP_1) | instskip(SKIP_3) | instid1(SALU_CYCLE_1)
	v_mov_b32_e32 v8, v1
	s_wait_kmcnt 0x0
	s_cmp_lg_u32 s4, 1
	s_cselect_b32 s11, -1, 0
	s_and_b32 vcc_lo, exec_lo, s11
	s_cbranch_vccnz .LBB79_3
; %bb.2:
	v_mul_u32_u24_e32 v6, 0x124a, v0
	s_delay_alu instid0(VALU_DEP_1)
	v_bfe_u32 v8, v6, 16, 1
.LBB79_3:
	s_bfe_u32 s4, ttmp6, 0x4000c
	s_and_b32 s5, ttmp6, 15
	s_add_co_i32 s4, s4, 1
	s_getreg_b32 s6, hwreg(HW_REG_IB_STS2, 6, 4)
	s_mul_i32 s4, ttmp9, s4
	s_delay_alu instid0(SALU_CYCLE_1) | instskip(SKIP_2) | instid1(SALU_CYCLE_1)
	s_add_co_i32 s5, s5, s4
	s_cmp_eq_u32 s6, 0
	s_cselect_b32 s8, ttmp9, s5
	s_ashr_i32 s9, s8, 31
	s_delay_alu instid0(SALU_CYCLE_1) | instskip(NEXT) | instid1(SALU_CYCLE_1)
	s_lshl_b64 s[4:5], s[8:9], 2
	s_add_nc_u64 s[4:5], s[2:3], s[4:5]
	s_load_b64 s[14:15], s[4:5], 0x0
	s_load_b64 s[2:3], s[0:1], 0x40
	s_wait_kmcnt 0x0
	s_cmp_ge_i32 s14, s15
	s_cbranch_scc1 .LBB79_8
; %bb.4:
	s_clause 0x1
	s_load_b128 s[4:7], s[0:1], 0x18
	s_load_b64 s[12:13], s[0:1], 0x30
	v_mad_u32 v10, s14, 28, v0
	v_mul_u32_u24_e32 v9, 0x925, v0
	s_wait_xcnt 0x0
	s_mul_i32 s0, s10, 28
	v_mov_b64_e32 v[6:7], 0
	s_sub_co_i32 s1, s14, s10
	v_lshrrev_b32_e32 v9, 16, v9
	s_delay_alu instid0(VALU_DEP_4)
	v_subrev_nc_u32_e32 v10, s0, v10
	s_sub_co_i32 s0, s15, s10
	s_branch .LBB79_6
.LBB79_5:                               ;   in Loop: Header=BB79_6 Depth=1
	s_or_b32 exec_lo, exec_lo, s9
	v_add_nc_u32_e32 v10, 56, v10
	s_add_co_i32 s1, s1, 2
	s_delay_alu instid0(SALU_CYCLE_1)
	s_cmp_ge_i32 s1, s0
	s_cbranch_scc1 .LBB79_9
.LBB79_6:                               ; =>This Inner Loop Header: Depth=1
	s_delay_alu instid0(VALU_DEP_2) | instskip(SKIP_1) | instid1(VALU_DEP_1)
	v_add_nc_u32_e32 v11, s1, v9
	s_mov_b32 s9, exec_lo
	v_cmpx_gt_i32_e64 s0, v11
	s_cbranch_execz .LBB79_5
; %bb.7:                                ;   in Loop: Header=BB79_6 Depth=1
	s_wait_kmcnt 0x0
	global_load_b32 v11, v11, s[4:5] scale_offset
	s_wait_loadcnt 0x0
	v_subrev_nc_u32_e32 v11, s10, v11
	s_delay_alu instid0(VALU_DEP_1) | instskip(SKIP_4) | instid1(VALU_DEP_1)
	v_lshl_or_b32 v11, v11, 1, v8
	global_load_b64 v[12:13], v11, s[12:13] scale_offset
	global_load_b64 v[14:15], v10, s[6:7] scale_offset
	s_wait_loadcnt 0x0
	v_pk_fma_f32 v[6:7], v[14:15], v[12:13], v[6:7] op_sel_hi:[1,0,1]
	v_pk_fma_f32 v[6:7], v[14:15], v[12:13], v[6:7] op_sel:[1,1,0] op_sel_hi:[0,1,1] neg_lo:[1,0,0]
	s_branch .LBB79_5
.LBB79_8:
	v_mov_b64_e32 v[6:7], 0
.LBB79_9:
	v_lshlrev_b32_e32 v10, 3, v0
	s_mov_b32 s0, exec_lo
	ds_store_b64 v10, v[6:7]
	s_wait_dscnt 0x0
	s_barrier_signal -1
	s_barrier_wait -1
	v_cmpx_gt_u32_e32 28, v0
	s_cbranch_execz .LBB79_11
; %bb.10:
	ds_load_2addr_b64 v[12:15], v10 offset1:28
	s_wait_dscnt 0x0
	v_pk_add_f32 v[8:9], v[14:15], v[12:13]
	ds_store_b64 v10, v[8:9]
.LBB79_11:
	s_or_b32 exec_lo, exec_lo, s0
	s_delay_alu instid0(SALU_CYCLE_1)
	s_and_b32 vcc_lo, exec_lo, s11
	s_wait_dscnt 0x0
	s_barrier_signal -1
	s_barrier_wait -1
	s_cbranch_vccz .LBB79_17
; %bb.12:
	s_mov_b32 s0, exec_lo
	v_cmpx_eq_u32_e32 0, v1
	s_cbranch_execz .LBB79_14
; %bb.13:
	ds_load_2addr_b64 v[12:15], v10 offset1:1
	s_wait_dscnt 0x0
	v_pk_add_f32 v[8:9], v[14:15], v[12:13]
	ds_store_b64 v10, v[8:9]
.LBB79_14:
	s_or_b32 exec_lo, exec_lo, s0
	v_mov_b64_e32 v[8:9], v[6:7]
	s_mov_b32 s0, exec_lo
	s_wait_dscnt 0x0
	s_barrier_signal -1
	s_barrier_wait -1
	v_cmpx_gt_u32_e32 14, v0
; %bb.15:
	v_lshl_add_u32 v1, v0, 3, v10
	ds_load_b64 v[8:9], v1
; %bb.16:
	s_or_b32 exec_lo, exec_lo, s0
	s_branch .LBB79_23
.LBB79_17:
                                        ; implicit-def: $vgpr8_vgpr9
	s_cbranch_execz .LBB79_23
; %bb.18:
	s_mov_b32 s0, exec_lo
	v_cmpx_lt_u32_e32 13, v0
	s_xor_b32 s0, exec_lo, s0
	s_cbranch_execz .LBB79_20
; %bb.19:
	s_wait_dscnt 0x0
                                        ; implicit-def: $vgpr10
.LBB79_20:
	s_and_not1_saveexec_b32 s0, s0
	s_cbranch_execz .LBB79_22
; %bb.21:
	s_wait_dscnt 0x0
	ds_load_2addr_b64 v[6:9], v10 offset1:14
	s_wait_dscnt 0x0
	v_pk_add_f32 v[6:7], v[8:9], v[6:7]
	ds_store_b64 v10, v[6:7]
	s_wait_dscnt 0x0
	ds_load_b64 v[6:7], v10
.LBB79_22:
	s_or_b32 exec_lo, exec_lo, s0
	s_wait_dscnt 0x0
	v_mov_b64_e32 v[8:9], v[6:7]
.LBB79_23:
	v_cmp_gt_u32_e32 vcc_lo, 14, v0
	s_and_b32 exec_lo, exec_lo, vcc_lo
	s_cbranch_execz .LBB79_28
; %bb.24:
	v_mad_u32 v6, s8, 14, v0
	v_cmp_eq_f32_e32 vcc_lo, 0, v4
	v_cmp_eq_f32_e64 s0, 0, v5
	v_xor_b32_e32 v0, 0x80000000, v3
	s_and_b32 s0, vcc_lo, s0
	s_delay_alu instid0(SALU_CYCLE_1) | instskip(NEXT) | instid1(SALU_CYCLE_1)
	s_and_saveexec_b32 s1, s0
	s_xor_b32 s0, exec_lo, s1
	s_cbranch_execz .LBB79_26
; %bb.25:
	v_mov_b32_e32 v1, v2
                                        ; implicit-def: $vgpr4_vgpr5
	s_wait_dscnt 0x0
	s_delay_alu instid0(VALU_DEP_1) | instskip(NEXT) | instid1(VALU_DEP_1)
	v_pk_mul_f32 v[0:1], v[8:9], v[0:1] op_sel:[1,0]
	v_pk_fma_f32 v[0:1], v[2:3], v[8:9], v[0:1] op_sel_hi:[1,0,1]
                                        ; implicit-def: $vgpr2_vgpr3
                                        ; implicit-def: $vgpr8_vgpr9
	global_store_b64 v6, v[0:1], s[2:3] scale_offset
                                        ; implicit-def: $vgpr6
                                        ; implicit-def: $vgpr0
.LBB79_26:
	s_wait_xcnt 0x0
	s_and_not1_saveexec_b32 s0, s0
	s_cbranch_execz .LBB79_28
; %bb.27:
	global_load_b64 v[10:11], v6, s[2:3] scale_offset
	v_mov_b32_e32 v1, v2
	s_wait_dscnt 0x0
	s_delay_alu instid0(VALU_DEP_1) | instskip(NEXT) | instid1(VALU_DEP_1)
	v_pk_mul_f32 v[0:1], v[8:9], v[0:1] op_sel:[1,0]
	v_pk_fma_f32 v[0:1], v[2:3], v[8:9], v[0:1] op_sel_hi:[1,0,1]
	v_xor_b32_e32 v2, 0x80000000, v5
	v_mov_b32_e32 v3, v4
	s_wait_loadcnt 0x0
	s_delay_alu instid0(VALU_DEP_3) | instskip(NEXT) | instid1(VALU_DEP_1)
	v_pk_fma_f32 v[0:1], v[4:5], v[10:11], v[0:1] op_sel_hi:[1,0,1]
	v_pk_fma_f32 v[0:1], v[2:3], v[10:11], v[0:1] op_sel:[0,1,0]
	global_store_b64 v6, v[0:1], s[2:3] scale_offset
.LBB79_28:
	s_endpgm
	.section	.rodata,"a",@progbits
	.p2align	6, 0x0
	.amdhsa_kernel _ZN9rocsparseL22gebsrmvn_mxn_16_kernelILj56ELj14ELj2E21rocsparse_complex_numIfEEEvi20rocsparse_direction_NS_24const_host_device_scalarIT2_EEPKiS8_PKS5_iiSA_S6_PS5_21rocsparse_index_base_b
		.amdhsa_group_segment_fixed_size 448
		.amdhsa_private_segment_fixed_size 0
		.amdhsa_kernarg_size 80
		.amdhsa_user_sgpr_count 2
		.amdhsa_user_sgpr_dispatch_ptr 0
		.amdhsa_user_sgpr_queue_ptr 0
		.amdhsa_user_sgpr_kernarg_segment_ptr 1
		.amdhsa_user_sgpr_dispatch_id 0
		.amdhsa_user_sgpr_kernarg_preload_length 0
		.amdhsa_user_sgpr_kernarg_preload_offset 0
		.amdhsa_user_sgpr_private_segment_size 0
		.amdhsa_wavefront_size32 1
		.amdhsa_uses_dynamic_stack 0
		.amdhsa_enable_private_segment 0
		.amdhsa_system_sgpr_workgroup_id_x 1
		.amdhsa_system_sgpr_workgroup_id_y 0
		.amdhsa_system_sgpr_workgroup_id_z 0
		.amdhsa_system_sgpr_workgroup_info 0
		.amdhsa_system_vgpr_workitem_id 0
		.amdhsa_next_free_vgpr 16
		.amdhsa_next_free_sgpr 16
		.amdhsa_named_barrier_count 0
		.amdhsa_reserve_vcc 1
		.amdhsa_float_round_mode_32 0
		.amdhsa_float_round_mode_16_64 0
		.amdhsa_float_denorm_mode_32 3
		.amdhsa_float_denorm_mode_16_64 3
		.amdhsa_fp16_overflow 0
		.amdhsa_memory_ordered 1
		.amdhsa_forward_progress 1
		.amdhsa_inst_pref_size 8
		.amdhsa_round_robin_scheduling 0
		.amdhsa_exception_fp_ieee_invalid_op 0
		.amdhsa_exception_fp_denorm_src 0
		.amdhsa_exception_fp_ieee_div_zero 0
		.amdhsa_exception_fp_ieee_overflow 0
		.amdhsa_exception_fp_ieee_underflow 0
		.amdhsa_exception_fp_ieee_inexact 0
		.amdhsa_exception_int_div_zero 0
	.end_amdhsa_kernel
	.section	.text._ZN9rocsparseL22gebsrmvn_mxn_16_kernelILj56ELj14ELj2E21rocsparse_complex_numIfEEEvi20rocsparse_direction_NS_24const_host_device_scalarIT2_EEPKiS8_PKS5_iiSA_S6_PS5_21rocsparse_index_base_b,"axG",@progbits,_ZN9rocsparseL22gebsrmvn_mxn_16_kernelILj56ELj14ELj2E21rocsparse_complex_numIfEEEvi20rocsparse_direction_NS_24const_host_device_scalarIT2_EEPKiS8_PKS5_iiSA_S6_PS5_21rocsparse_index_base_b,comdat
.Lfunc_end79:
	.size	_ZN9rocsparseL22gebsrmvn_mxn_16_kernelILj56ELj14ELj2E21rocsparse_complex_numIfEEEvi20rocsparse_direction_NS_24const_host_device_scalarIT2_EEPKiS8_PKS5_iiSA_S6_PS5_21rocsparse_index_base_b, .Lfunc_end79-_ZN9rocsparseL22gebsrmvn_mxn_16_kernelILj56ELj14ELj2E21rocsparse_complex_numIfEEEvi20rocsparse_direction_NS_24const_host_device_scalarIT2_EEPKiS8_PKS5_iiSA_S6_PS5_21rocsparse_index_base_b
                                        ; -- End function
	.set _ZN9rocsparseL22gebsrmvn_mxn_16_kernelILj56ELj14ELj2E21rocsparse_complex_numIfEEEvi20rocsparse_direction_NS_24const_host_device_scalarIT2_EEPKiS8_PKS5_iiSA_S6_PS5_21rocsparse_index_base_b.num_vgpr, 16
	.set _ZN9rocsparseL22gebsrmvn_mxn_16_kernelILj56ELj14ELj2E21rocsparse_complex_numIfEEEvi20rocsparse_direction_NS_24const_host_device_scalarIT2_EEPKiS8_PKS5_iiSA_S6_PS5_21rocsparse_index_base_b.num_agpr, 0
	.set _ZN9rocsparseL22gebsrmvn_mxn_16_kernelILj56ELj14ELj2E21rocsparse_complex_numIfEEEvi20rocsparse_direction_NS_24const_host_device_scalarIT2_EEPKiS8_PKS5_iiSA_S6_PS5_21rocsparse_index_base_b.numbered_sgpr, 16
	.set _ZN9rocsparseL22gebsrmvn_mxn_16_kernelILj56ELj14ELj2E21rocsparse_complex_numIfEEEvi20rocsparse_direction_NS_24const_host_device_scalarIT2_EEPKiS8_PKS5_iiSA_S6_PS5_21rocsparse_index_base_b.num_named_barrier, 0
	.set _ZN9rocsparseL22gebsrmvn_mxn_16_kernelILj56ELj14ELj2E21rocsparse_complex_numIfEEEvi20rocsparse_direction_NS_24const_host_device_scalarIT2_EEPKiS8_PKS5_iiSA_S6_PS5_21rocsparse_index_base_b.private_seg_size, 0
	.set _ZN9rocsparseL22gebsrmvn_mxn_16_kernelILj56ELj14ELj2E21rocsparse_complex_numIfEEEvi20rocsparse_direction_NS_24const_host_device_scalarIT2_EEPKiS8_PKS5_iiSA_S6_PS5_21rocsparse_index_base_b.uses_vcc, 1
	.set _ZN9rocsparseL22gebsrmvn_mxn_16_kernelILj56ELj14ELj2E21rocsparse_complex_numIfEEEvi20rocsparse_direction_NS_24const_host_device_scalarIT2_EEPKiS8_PKS5_iiSA_S6_PS5_21rocsparse_index_base_b.uses_flat_scratch, 1
	.set _ZN9rocsparseL22gebsrmvn_mxn_16_kernelILj56ELj14ELj2E21rocsparse_complex_numIfEEEvi20rocsparse_direction_NS_24const_host_device_scalarIT2_EEPKiS8_PKS5_iiSA_S6_PS5_21rocsparse_index_base_b.has_dyn_sized_stack, 0
	.set _ZN9rocsparseL22gebsrmvn_mxn_16_kernelILj56ELj14ELj2E21rocsparse_complex_numIfEEEvi20rocsparse_direction_NS_24const_host_device_scalarIT2_EEPKiS8_PKS5_iiSA_S6_PS5_21rocsparse_index_base_b.has_recursion, 0
	.set _ZN9rocsparseL22gebsrmvn_mxn_16_kernelILj56ELj14ELj2E21rocsparse_complex_numIfEEEvi20rocsparse_direction_NS_24const_host_device_scalarIT2_EEPKiS8_PKS5_iiSA_S6_PS5_21rocsparse_index_base_b.has_indirect_call, 0
	.section	.AMDGPU.csdata,"",@progbits
; Kernel info:
; codeLenInByte = 1000
; TotalNumSgprs: 18
; NumVgprs: 16
; ScratchSize: 0
; MemoryBound: 0
; FloatMode: 240
; IeeeMode: 1
; LDSByteSize: 448 bytes/workgroup (compile time only)
; SGPRBlocks: 0
; VGPRBlocks: 0
; NumSGPRsForWavesPerEU: 18
; NumVGPRsForWavesPerEU: 16
; NamedBarCnt: 0
; Occupancy: 16
; WaveLimiterHint : 1
; COMPUTE_PGM_RSRC2:SCRATCH_EN: 0
; COMPUTE_PGM_RSRC2:USER_SGPR: 2
; COMPUTE_PGM_RSRC2:TRAP_HANDLER: 0
; COMPUTE_PGM_RSRC2:TGID_X_EN: 1
; COMPUTE_PGM_RSRC2:TGID_Y_EN: 0
; COMPUTE_PGM_RSRC2:TGID_Z_EN: 0
; COMPUTE_PGM_RSRC2:TIDIG_COMP_CNT: 0
	.section	.text._ZN9rocsparseL22gebsrmvn_mxn_16_kernelILj42ELj14ELj3E21rocsparse_complex_numIfEEEvi20rocsparse_direction_NS_24const_host_device_scalarIT2_EEPKiS8_PKS5_iiSA_S6_PS5_21rocsparse_index_base_b,"axG",@progbits,_ZN9rocsparseL22gebsrmvn_mxn_16_kernelILj42ELj14ELj3E21rocsparse_complex_numIfEEEvi20rocsparse_direction_NS_24const_host_device_scalarIT2_EEPKiS8_PKS5_iiSA_S6_PS5_21rocsparse_index_base_b,comdat
	.globl	_ZN9rocsparseL22gebsrmvn_mxn_16_kernelILj42ELj14ELj3E21rocsparse_complex_numIfEEEvi20rocsparse_direction_NS_24const_host_device_scalarIT2_EEPKiS8_PKS5_iiSA_S6_PS5_21rocsparse_index_base_b ; -- Begin function _ZN9rocsparseL22gebsrmvn_mxn_16_kernelILj42ELj14ELj3E21rocsparse_complex_numIfEEEvi20rocsparse_direction_NS_24const_host_device_scalarIT2_EEPKiS8_PKS5_iiSA_S6_PS5_21rocsparse_index_base_b
	.p2align	8
	.type	_ZN9rocsparseL22gebsrmvn_mxn_16_kernelILj42ELj14ELj3E21rocsparse_complex_numIfEEEvi20rocsparse_direction_NS_24const_host_device_scalarIT2_EEPKiS8_PKS5_iiSA_S6_PS5_21rocsparse_index_base_b,@function
_ZN9rocsparseL22gebsrmvn_mxn_16_kernelILj42ELj14ELj3E21rocsparse_complex_numIfEEEvi20rocsparse_direction_NS_24const_host_device_scalarIT2_EEPKiS8_PKS5_iiSA_S6_PS5_21rocsparse_index_base_b: ; @_ZN9rocsparseL22gebsrmvn_mxn_16_kernelILj42ELj14ELj3E21rocsparse_complex_numIfEEEvi20rocsparse_direction_NS_24const_host_device_scalarIT2_EEPKiS8_PKS5_iiSA_S6_PS5_21rocsparse_index_base_b
; %bb.0:
	s_clause 0x2
	s_load_b64 s[10:11], s[0:1], 0x48
	s_load_b64 s[2:3], s[0:1], 0x8
	;; [unrolled: 1-line block ×3, first 2 shown]
	v_mov_b32_e32 v1, 0
	s_add_nc_u64 s[6:7], s[0:1], 8
	s_add_nc_u64 s[8:9], s[0:1], 56
	s_wait_kmcnt 0x0
	s_bitcmp1_b32 s11, 0
	s_cselect_b32 s3, s7, s3
	s_cselect_b32 s2, s6, s2
	;; [unrolled: 1-line block ×4, first 2 shown]
	s_clause 0x1
	flat_load_b64 v[2:3], v1, s[2:3]
	flat_load_b64 v[4:5], v1, s[4:5]
	s_wait_loadcnt_dscnt 0x101
	v_cmp_eq_f32_e32 vcc_lo, 0, v2
	v_cmp_eq_f32_e64 s2, 0, v3
	s_wait_loadcnt_dscnt 0x0
	v_cmp_eq_f32_e64 s3, 1.0, v4
	v_cmp_eq_f32_e64 s4, 0, v5
	s_and_b32 s2, vcc_lo, s2
	s_and_b32 s3, s3, s4
	s_delay_alu instid0(SALU_CYCLE_1) | instskip(NEXT) | instid1(SALU_CYCLE_1)
	s_and_b32 s2, s2, s3
	s_xor_b32 s2, s2, -1
	s_delay_alu instid0(SALU_CYCLE_1)
	s_and_saveexec_b32 s3, s2
	s_cbranch_execz .LBB80_30
; %bb.1:
	v_mul_u32_u24_e32 v1, 0x5556, v0
	s_clause 0x1
	s_load_b32 s4, s[0:1], 0x4
	s_load_b64 s[2:3], s[0:1], 0x10
	v_and_b32_e32 v6, 0xffff, v0
	v_lshrrev_b32_e32 v1, 16, v1
	s_delay_alu instid0(VALU_DEP_1) | instskip(NEXT) | instid1(VALU_DEP_1)
	v_mul_lo_u16 v1, v1, 3
	v_sub_nc_u16 v1, v0, v1
	s_delay_alu instid0(VALU_DEP_1) | instskip(SKIP_3) | instid1(SALU_CYCLE_1)
	v_and_b32_e32 v8, 0xffff, v1
	s_wait_kmcnt 0x0
	s_cmp_lg_u32 s4, 1
	s_cselect_b32 s11, -1, 0
	s_and_b32 vcc_lo, exec_lo, s11
	v_mov_b32_e32 v1, v8
	s_cbranch_vccnz .LBB80_3
; %bb.2:
	v_mul_u32_u24_e32 v1, 0x124a, v6
	s_delay_alu instid0(VALU_DEP_1) | instskip(NEXT) | instid1(VALU_DEP_1)
	v_lshrrev_b32_e32 v1, 16, v1
	v_mul_lo_u16 v7, 0x56, v1
	s_delay_alu instid0(VALU_DEP_1) | instskip(NEXT) | instid1(VALU_DEP_1)
	v_lshrrev_b16 v7, 8, v7
	v_mul_lo_u16 v7, v7, 3
	s_delay_alu instid0(VALU_DEP_1) | instskip(NEXT) | instid1(VALU_DEP_1)
	v_sub_nc_u16 v1, v1, v7
	v_and_b32_e32 v1, 0xff, v1
.LBB80_3:
	s_bfe_u32 s4, ttmp6, 0x4000c
	s_and_b32 s5, ttmp6, 15
	s_add_co_i32 s4, s4, 1
	s_getreg_b32 s6, hwreg(HW_REG_IB_STS2, 6, 4)
	s_mul_i32 s4, ttmp9, s4
	s_delay_alu instid0(SALU_CYCLE_1) | instskip(SKIP_2) | instid1(SALU_CYCLE_1)
	s_add_co_i32 s5, s5, s4
	s_cmp_eq_u32 s6, 0
	s_cselect_b32 s8, ttmp9, s5
	s_ashr_i32 s9, s8, 31
	s_delay_alu instid0(SALU_CYCLE_1) | instskip(NEXT) | instid1(SALU_CYCLE_1)
	s_lshl_b64 s[4:5], s[8:9], 2
	s_add_nc_u64 s[4:5], s[2:3], s[4:5]
	s_load_b64 s[14:15], s[4:5], 0x0
	s_load_b64 s[2:3], s[0:1], 0x40
	s_wait_kmcnt 0x0
	s_cmp_ge_i32 s14, s15
	s_cbranch_scc1 .LBB80_8
; %bb.4:
	s_clause 0x1
	s_load_b128 s[4:7], s[0:1], 0x18
	s_load_b64 s[12:13], s[0:1], 0x30
	v_mad_u32 v10, s14, 42, v0
	v_mul_u32_u24_e32 v9, 0x619, v6
	s_wait_xcnt 0x0
	s_mul_i32 s0, s10, 42
	v_mov_b64_e32 v[6:7], 0
	s_sub_co_i32 s1, s14, s10
	v_lshrrev_b32_e32 v9, 16, v9
	s_delay_alu instid0(VALU_DEP_4)
	v_subrev_nc_u32_e32 v10, s0, v10
	s_sub_co_i32 s0, s15, s10
	s_branch .LBB80_6
.LBB80_5:                               ;   in Loop: Header=BB80_6 Depth=1
	s_or_b32 exec_lo, exec_lo, s9
	v_add_nc_u32_e32 v10, 42, v10
	s_add_co_i32 s1, s1, 1
	s_delay_alu instid0(SALU_CYCLE_1)
	s_cmp_ge_i32 s1, s0
	s_cbranch_scc1 .LBB80_9
.LBB80_6:                               ; =>This Inner Loop Header: Depth=1
	s_delay_alu instid0(VALU_DEP_2) | instskip(SKIP_1) | instid1(VALU_DEP_1)
	v_add_nc_u32_e32 v11, s1, v9
	s_mov_b32 s9, exec_lo
	v_cmpx_gt_i32_e64 s0, v11
	s_cbranch_execz .LBB80_5
; %bb.7:                                ;   in Loop: Header=BB80_6 Depth=1
	s_wait_kmcnt 0x0
	global_load_b32 v11, v11, s[4:5] scale_offset
	s_wait_loadcnt 0x0
	v_subrev_nc_u32_e32 v11, s10, v11
	s_delay_alu instid0(VALU_DEP_1) | instskip(SKIP_4) | instid1(VALU_DEP_1)
	v_mad_u32 v11, v11, 3, v1
	global_load_b64 v[12:13], v11, s[12:13] scale_offset
	global_load_b64 v[14:15], v10, s[6:7] scale_offset
	s_wait_loadcnt 0x0
	v_pk_fma_f32 v[6:7], v[14:15], v[12:13], v[6:7] op_sel_hi:[1,0,1]
	v_pk_fma_f32 v[6:7], v[14:15], v[12:13], v[6:7] op_sel:[1,1,0] op_sel_hi:[0,1,1] neg_lo:[1,0,0]
	s_branch .LBB80_5
.LBB80_8:
	v_mov_b64_e32 v[6:7], 0
.LBB80_9:
	v_lshlrev_b32_e32 v1, 3, v0
	s_and_b32 vcc_lo, exec_lo, s11
	ds_store_b64 v1, v[6:7]
	s_wait_dscnt 0x0
	s_barrier_signal -1
	s_barrier_wait -1
	s_cbranch_vccz .LBB80_17
; %bb.10:
	v_cmp_eq_u16_e32 vcc_lo, 0, v8
	s_and_saveexec_b32 s0, vcc_lo
	s_cbranch_execz .LBB80_12
; %bb.11:
	ds_load_2addr_b64 v[8:11], v1 offset1:2
	s_wait_dscnt 0x0
	v_pk_add_f32 v[8:9], v[10:11], v[8:9]
	ds_store_b64 v1, v[8:9]
.LBB80_12:
	s_or_b32 exec_lo, exec_lo, s0
	s_wait_dscnt 0x0
	s_barrier_signal -1
	s_barrier_wait -1
	s_and_saveexec_b32 s0, vcc_lo
	s_cbranch_execz .LBB80_14
; %bb.13:
	ds_load_2addr_b64 v[8:11], v1 offset1:1
	s_wait_dscnt 0x0
	v_pk_add_f32 v[8:9], v[10:11], v[8:9]
	ds_store_b64 v1, v[8:9]
.LBB80_14:
	s_or_b32 exec_lo, exec_lo, s0
	v_mov_b64_e32 v[8:9], v[6:7]
	s_mov_b32 s0, exec_lo
	s_wait_dscnt 0x0
	s_barrier_signal -1
	s_barrier_wait -1
	v_cmpx_gt_u32_e32 14, v0
; %bb.15:
	v_lshl_add_u32 v8, v0, 4, v1
	ds_load_b64 v[8:9], v8
; %bb.16:
	s_or_b32 exec_lo, exec_lo, s0
	v_cmp_gt_u32_e64 s0, 14, v0
	s_branch .LBB80_25
.LBB80_17:
                                        ; implicit-def: $vgpr8_vgpr9
	v_cmp_gt_u32_e64 s0, 14, v0
	s_cbranch_execz .LBB80_25
; %bb.18:
	v_cmp_lt_u32_e32 vcc_lo, 13, v0
	s_and_saveexec_b32 s1, s0
	s_cbranch_execz .LBB80_20
; %bb.19:
	s_wait_dscnt 0x0
	ds_load_2addr_b64 v[8:11], v1 offset1:28
	s_wait_dscnt 0x0
	v_pk_add_f32 v[8:9], v[10:11], v[8:9]
	ds_store_b64 v1, v[8:9]
.LBB80_20:
	s_or_b32 exec_lo, exec_lo, s1
	s_wait_dscnt 0x0
	s_barrier_signal -1
	s_barrier_wait -1
	s_and_saveexec_b32 s0, vcc_lo
	s_delay_alu instid0(SALU_CYCLE_1)
	s_xor_b32 s0, exec_lo, s0
; %bb.21:
                                        ; implicit-def: $vgpr1
; %bb.22:
	s_delay_alu instid0(SALU_CYCLE_1)
	s_and_not1_saveexec_b32 s0, s0
	s_cbranch_execz .LBB80_24
; %bb.23:
	ds_load_2addr_b64 v[6:9], v1 offset1:14
	s_wait_dscnt 0x0
	v_pk_add_f32 v[6:7], v[8:9], v[6:7]
	ds_store_b64 v1, v[6:7]
	s_wait_dscnt 0x0
	ds_load_b64 v[6:7], v1
.LBB80_24:
	s_or_b32 exec_lo, exec_lo, s0
	s_wait_dscnt 0x0
	v_mov_b64_e32 v[8:9], v[6:7]
.LBB80_25:
	v_cmp_gt_u32_e32 vcc_lo, 14, v0
	s_and_b32 exec_lo, exec_lo, vcc_lo
	s_cbranch_execz .LBB80_30
; %bb.26:
	v_mad_u32 v6, s8, 14, v0
	v_cmp_eq_f32_e32 vcc_lo, 0, v4
	v_cmp_eq_f32_e64 s0, 0, v5
	v_xor_b32_e32 v0, 0x80000000, v3
	s_and_b32 s0, vcc_lo, s0
	s_delay_alu instid0(SALU_CYCLE_1) | instskip(NEXT) | instid1(SALU_CYCLE_1)
	s_and_saveexec_b32 s1, s0
	s_xor_b32 s0, exec_lo, s1
	s_cbranch_execz .LBB80_28
; %bb.27:
	v_mov_b32_e32 v1, v2
                                        ; implicit-def: $vgpr4_vgpr5
	s_wait_dscnt 0x0
	s_delay_alu instid0(VALU_DEP_1) | instskip(NEXT) | instid1(VALU_DEP_1)
	v_pk_mul_f32 v[0:1], v[8:9], v[0:1] op_sel:[1,0]
	v_pk_fma_f32 v[0:1], v[2:3], v[8:9], v[0:1] op_sel_hi:[1,0,1]
                                        ; implicit-def: $vgpr2_vgpr3
                                        ; implicit-def: $vgpr8_vgpr9
	global_store_b64 v6, v[0:1], s[2:3] scale_offset
                                        ; implicit-def: $vgpr6
                                        ; implicit-def: $vgpr0
.LBB80_28:
	s_wait_xcnt 0x0
	s_and_not1_saveexec_b32 s0, s0
	s_cbranch_execz .LBB80_30
; %bb.29:
	global_load_b64 v[10:11], v6, s[2:3] scale_offset
	v_mov_b32_e32 v1, v2
	s_wait_dscnt 0x0
	s_delay_alu instid0(VALU_DEP_1) | instskip(NEXT) | instid1(VALU_DEP_1)
	v_pk_mul_f32 v[0:1], v[8:9], v[0:1] op_sel:[1,0]
	v_pk_fma_f32 v[0:1], v[2:3], v[8:9], v[0:1] op_sel_hi:[1,0,1]
	v_xor_b32_e32 v2, 0x80000000, v5
	v_mov_b32_e32 v3, v4
	s_wait_loadcnt 0x0
	s_delay_alu instid0(VALU_DEP_3) | instskip(NEXT) | instid1(VALU_DEP_1)
	v_pk_fma_f32 v[0:1], v[4:5], v[10:11], v[0:1] op_sel_hi:[1,0,1]
	v_pk_fma_f32 v[0:1], v[2:3], v[10:11], v[0:1] op_sel:[0,1,0]
	global_store_b64 v6, v[0:1], s[2:3] scale_offset
.LBB80_30:
	s_endpgm
	.section	.rodata,"a",@progbits
	.p2align	6, 0x0
	.amdhsa_kernel _ZN9rocsparseL22gebsrmvn_mxn_16_kernelILj42ELj14ELj3E21rocsparse_complex_numIfEEEvi20rocsparse_direction_NS_24const_host_device_scalarIT2_EEPKiS8_PKS5_iiSA_S6_PS5_21rocsparse_index_base_b
		.amdhsa_group_segment_fixed_size 336
		.amdhsa_private_segment_fixed_size 0
		.amdhsa_kernarg_size 80
		.amdhsa_user_sgpr_count 2
		.amdhsa_user_sgpr_dispatch_ptr 0
		.amdhsa_user_sgpr_queue_ptr 0
		.amdhsa_user_sgpr_kernarg_segment_ptr 1
		.amdhsa_user_sgpr_dispatch_id 0
		.amdhsa_user_sgpr_kernarg_preload_length 0
		.amdhsa_user_sgpr_kernarg_preload_offset 0
		.amdhsa_user_sgpr_private_segment_size 0
		.amdhsa_wavefront_size32 1
		.amdhsa_uses_dynamic_stack 0
		.amdhsa_enable_private_segment 0
		.amdhsa_system_sgpr_workgroup_id_x 1
		.amdhsa_system_sgpr_workgroup_id_y 0
		.amdhsa_system_sgpr_workgroup_id_z 0
		.amdhsa_system_sgpr_workgroup_info 0
		.amdhsa_system_vgpr_workitem_id 0
		.amdhsa_next_free_vgpr 16
		.amdhsa_next_free_sgpr 16
		.amdhsa_named_barrier_count 0
		.amdhsa_reserve_vcc 1
		.amdhsa_float_round_mode_32 0
		.amdhsa_float_round_mode_16_64 0
		.amdhsa_float_denorm_mode_32 3
		.amdhsa_float_denorm_mode_16_64 3
		.amdhsa_fp16_overflow 0
		.amdhsa_memory_ordered 1
		.amdhsa_forward_progress 1
		.amdhsa_inst_pref_size 9
		.amdhsa_round_robin_scheduling 0
		.amdhsa_exception_fp_ieee_invalid_op 0
		.amdhsa_exception_fp_denorm_src 0
		.amdhsa_exception_fp_ieee_div_zero 0
		.amdhsa_exception_fp_ieee_overflow 0
		.amdhsa_exception_fp_ieee_underflow 0
		.amdhsa_exception_fp_ieee_inexact 0
		.amdhsa_exception_int_div_zero 0
	.end_amdhsa_kernel
	.section	.text._ZN9rocsparseL22gebsrmvn_mxn_16_kernelILj42ELj14ELj3E21rocsparse_complex_numIfEEEvi20rocsparse_direction_NS_24const_host_device_scalarIT2_EEPKiS8_PKS5_iiSA_S6_PS5_21rocsparse_index_base_b,"axG",@progbits,_ZN9rocsparseL22gebsrmvn_mxn_16_kernelILj42ELj14ELj3E21rocsparse_complex_numIfEEEvi20rocsparse_direction_NS_24const_host_device_scalarIT2_EEPKiS8_PKS5_iiSA_S6_PS5_21rocsparse_index_base_b,comdat
.Lfunc_end80:
	.size	_ZN9rocsparseL22gebsrmvn_mxn_16_kernelILj42ELj14ELj3E21rocsparse_complex_numIfEEEvi20rocsparse_direction_NS_24const_host_device_scalarIT2_EEPKiS8_PKS5_iiSA_S6_PS5_21rocsparse_index_base_b, .Lfunc_end80-_ZN9rocsparseL22gebsrmvn_mxn_16_kernelILj42ELj14ELj3E21rocsparse_complex_numIfEEEvi20rocsparse_direction_NS_24const_host_device_scalarIT2_EEPKiS8_PKS5_iiSA_S6_PS5_21rocsparse_index_base_b
                                        ; -- End function
	.set _ZN9rocsparseL22gebsrmvn_mxn_16_kernelILj42ELj14ELj3E21rocsparse_complex_numIfEEEvi20rocsparse_direction_NS_24const_host_device_scalarIT2_EEPKiS8_PKS5_iiSA_S6_PS5_21rocsparse_index_base_b.num_vgpr, 16
	.set _ZN9rocsparseL22gebsrmvn_mxn_16_kernelILj42ELj14ELj3E21rocsparse_complex_numIfEEEvi20rocsparse_direction_NS_24const_host_device_scalarIT2_EEPKiS8_PKS5_iiSA_S6_PS5_21rocsparse_index_base_b.num_agpr, 0
	.set _ZN9rocsparseL22gebsrmvn_mxn_16_kernelILj42ELj14ELj3E21rocsparse_complex_numIfEEEvi20rocsparse_direction_NS_24const_host_device_scalarIT2_EEPKiS8_PKS5_iiSA_S6_PS5_21rocsparse_index_base_b.numbered_sgpr, 16
	.set _ZN9rocsparseL22gebsrmvn_mxn_16_kernelILj42ELj14ELj3E21rocsparse_complex_numIfEEEvi20rocsparse_direction_NS_24const_host_device_scalarIT2_EEPKiS8_PKS5_iiSA_S6_PS5_21rocsparse_index_base_b.num_named_barrier, 0
	.set _ZN9rocsparseL22gebsrmvn_mxn_16_kernelILj42ELj14ELj3E21rocsparse_complex_numIfEEEvi20rocsparse_direction_NS_24const_host_device_scalarIT2_EEPKiS8_PKS5_iiSA_S6_PS5_21rocsparse_index_base_b.private_seg_size, 0
	.set _ZN9rocsparseL22gebsrmvn_mxn_16_kernelILj42ELj14ELj3E21rocsparse_complex_numIfEEEvi20rocsparse_direction_NS_24const_host_device_scalarIT2_EEPKiS8_PKS5_iiSA_S6_PS5_21rocsparse_index_base_b.uses_vcc, 1
	.set _ZN9rocsparseL22gebsrmvn_mxn_16_kernelILj42ELj14ELj3E21rocsparse_complex_numIfEEEvi20rocsparse_direction_NS_24const_host_device_scalarIT2_EEPKiS8_PKS5_iiSA_S6_PS5_21rocsparse_index_base_b.uses_flat_scratch, 1
	.set _ZN9rocsparseL22gebsrmvn_mxn_16_kernelILj42ELj14ELj3E21rocsparse_complex_numIfEEEvi20rocsparse_direction_NS_24const_host_device_scalarIT2_EEPKiS8_PKS5_iiSA_S6_PS5_21rocsparse_index_base_b.has_dyn_sized_stack, 0
	.set _ZN9rocsparseL22gebsrmvn_mxn_16_kernelILj42ELj14ELj3E21rocsparse_complex_numIfEEEvi20rocsparse_direction_NS_24const_host_device_scalarIT2_EEPKiS8_PKS5_iiSA_S6_PS5_21rocsparse_index_base_b.has_recursion, 0
	.set _ZN9rocsparseL22gebsrmvn_mxn_16_kernelILj42ELj14ELj3E21rocsparse_complex_numIfEEEvi20rocsparse_direction_NS_24const_host_device_scalarIT2_EEPKiS8_PKS5_iiSA_S6_PS5_21rocsparse_index_base_b.has_indirect_call, 0
	.section	.AMDGPU.csdata,"",@progbits
; Kernel info:
; codeLenInByte = 1152
; TotalNumSgprs: 18
; NumVgprs: 16
; ScratchSize: 0
; MemoryBound: 0
; FloatMode: 240
; IeeeMode: 1
; LDSByteSize: 336 bytes/workgroup (compile time only)
; SGPRBlocks: 0
; VGPRBlocks: 0
; NumSGPRsForWavesPerEU: 18
; NumVGPRsForWavesPerEU: 16
; NamedBarCnt: 0
; Occupancy: 16
; WaveLimiterHint : 1
; COMPUTE_PGM_RSRC2:SCRATCH_EN: 0
; COMPUTE_PGM_RSRC2:USER_SGPR: 2
; COMPUTE_PGM_RSRC2:TRAP_HANDLER: 0
; COMPUTE_PGM_RSRC2:TGID_X_EN: 1
; COMPUTE_PGM_RSRC2:TGID_Y_EN: 0
; COMPUTE_PGM_RSRC2:TGID_Z_EN: 0
; COMPUTE_PGM_RSRC2:TIDIG_COMP_CNT: 0
	.section	.text._ZN9rocsparseL22gebsrmvn_mxn_16_kernelILj56ELj14ELj4E21rocsparse_complex_numIfEEEvi20rocsparse_direction_NS_24const_host_device_scalarIT2_EEPKiS8_PKS5_iiSA_S6_PS5_21rocsparse_index_base_b,"axG",@progbits,_ZN9rocsparseL22gebsrmvn_mxn_16_kernelILj56ELj14ELj4E21rocsparse_complex_numIfEEEvi20rocsparse_direction_NS_24const_host_device_scalarIT2_EEPKiS8_PKS5_iiSA_S6_PS5_21rocsparse_index_base_b,comdat
	.globl	_ZN9rocsparseL22gebsrmvn_mxn_16_kernelILj56ELj14ELj4E21rocsparse_complex_numIfEEEvi20rocsparse_direction_NS_24const_host_device_scalarIT2_EEPKiS8_PKS5_iiSA_S6_PS5_21rocsparse_index_base_b ; -- Begin function _ZN9rocsparseL22gebsrmvn_mxn_16_kernelILj56ELj14ELj4E21rocsparse_complex_numIfEEEvi20rocsparse_direction_NS_24const_host_device_scalarIT2_EEPKiS8_PKS5_iiSA_S6_PS5_21rocsparse_index_base_b
	.p2align	8
	.type	_ZN9rocsparseL22gebsrmvn_mxn_16_kernelILj56ELj14ELj4E21rocsparse_complex_numIfEEEvi20rocsparse_direction_NS_24const_host_device_scalarIT2_EEPKiS8_PKS5_iiSA_S6_PS5_21rocsparse_index_base_b,@function
_ZN9rocsparseL22gebsrmvn_mxn_16_kernelILj56ELj14ELj4E21rocsparse_complex_numIfEEEvi20rocsparse_direction_NS_24const_host_device_scalarIT2_EEPKiS8_PKS5_iiSA_S6_PS5_21rocsparse_index_base_b: ; @_ZN9rocsparseL22gebsrmvn_mxn_16_kernelILj56ELj14ELj4E21rocsparse_complex_numIfEEEvi20rocsparse_direction_NS_24const_host_device_scalarIT2_EEPKiS8_PKS5_iiSA_S6_PS5_21rocsparse_index_base_b
; %bb.0:
	s_clause 0x2
	s_load_b64 s[10:11], s[0:1], 0x48
	s_load_b64 s[2:3], s[0:1], 0x8
	;; [unrolled: 1-line block ×3, first 2 shown]
	v_mov_b32_e32 v1, 0
	s_add_nc_u64 s[6:7], s[0:1], 8
	s_add_nc_u64 s[8:9], s[0:1], 56
	s_wait_kmcnt 0x0
	s_bitcmp1_b32 s11, 0
	s_cselect_b32 s3, s7, s3
	s_cselect_b32 s2, s6, s2
	;; [unrolled: 1-line block ×4, first 2 shown]
	s_clause 0x1
	flat_load_b64 v[2:3], v1, s[2:3]
	flat_load_b64 v[4:5], v1, s[4:5]
	s_wait_loadcnt_dscnt 0x101
	v_cmp_eq_f32_e32 vcc_lo, 0, v2
	v_cmp_eq_f32_e64 s2, 0, v3
	s_wait_loadcnt_dscnt 0x0
	v_cmp_eq_f32_e64 s3, 1.0, v4
	v_cmp_eq_f32_e64 s4, 0, v5
	s_and_b32 s2, vcc_lo, s2
	s_and_b32 s3, s3, s4
	s_delay_alu instid0(SALU_CYCLE_1) | instskip(NEXT) | instid1(SALU_CYCLE_1)
	s_and_b32 s2, s2, s3
	s_xor_b32 s2, s2, -1
	s_delay_alu instid0(SALU_CYCLE_1)
	s_and_saveexec_b32 s3, s2
	s_cbranch_execz .LBB81_30
; %bb.1:
	s_clause 0x1
	s_load_b32 s4, s[0:1], 0x4
	s_load_b64 s[2:3], s[0:1], 0x10
	v_and_b32_e32 v1, 3, v0
	s_delay_alu instid0(VALU_DEP_1) | instskip(SKIP_3) | instid1(SALU_CYCLE_1)
	v_mov_b32_e32 v8, v1
	s_wait_kmcnt 0x0
	s_cmp_lg_u32 s4, 1
	s_cselect_b32 s11, -1, 0
	s_and_b32 vcc_lo, exec_lo, s11
	s_cbranch_vccnz .LBB81_3
; %bb.2:
	v_mul_u32_u24_e32 v6, 0x124a, v0
	s_delay_alu instid0(VALU_DEP_1)
	v_bfe_u32 v8, v6, 16, 2
.LBB81_3:
	s_bfe_u32 s4, ttmp6, 0x4000c
	s_and_b32 s5, ttmp6, 15
	s_add_co_i32 s4, s4, 1
	s_getreg_b32 s6, hwreg(HW_REG_IB_STS2, 6, 4)
	s_mul_i32 s4, ttmp9, s4
	s_delay_alu instid0(SALU_CYCLE_1) | instskip(SKIP_2) | instid1(SALU_CYCLE_1)
	s_add_co_i32 s5, s5, s4
	s_cmp_eq_u32 s6, 0
	s_cselect_b32 s8, ttmp9, s5
	s_ashr_i32 s9, s8, 31
	s_delay_alu instid0(SALU_CYCLE_1) | instskip(NEXT) | instid1(SALU_CYCLE_1)
	s_lshl_b64 s[4:5], s[8:9], 2
	s_add_nc_u64 s[4:5], s[2:3], s[4:5]
	s_load_b64 s[14:15], s[4:5], 0x0
	s_load_b64 s[2:3], s[0:1], 0x40
	s_wait_kmcnt 0x0
	s_cmp_ge_i32 s14, s15
	s_cbranch_scc1 .LBB81_8
; %bb.4:
	s_clause 0x1
	s_load_b128 s[4:7], s[0:1], 0x18
	s_load_b64 s[12:13], s[0:1], 0x30
	v_mad_u32 v10, s14, 56, v0
	v_mul_u32_u24_e32 v9, 0x493, v0
	s_wait_xcnt 0x0
	s_mul_i32 s0, s10, 56
	v_mov_b64_e32 v[6:7], 0
	s_sub_co_i32 s1, s14, s10
	v_lshrrev_b32_e32 v9, 16, v9
	s_delay_alu instid0(VALU_DEP_4)
	v_subrev_nc_u32_e32 v10, s0, v10
	s_sub_co_i32 s0, s15, s10
	s_branch .LBB81_6
.LBB81_5:                               ;   in Loop: Header=BB81_6 Depth=1
	s_or_b32 exec_lo, exec_lo, s9
	v_add_nc_u32_e32 v10, 56, v10
	s_add_co_i32 s1, s1, 1
	s_delay_alu instid0(SALU_CYCLE_1)
	s_cmp_ge_i32 s1, s0
	s_cbranch_scc1 .LBB81_9
.LBB81_6:                               ; =>This Inner Loop Header: Depth=1
	s_delay_alu instid0(VALU_DEP_2) | instskip(SKIP_1) | instid1(VALU_DEP_1)
	v_add_nc_u32_e32 v11, s1, v9
	s_mov_b32 s9, exec_lo
	v_cmpx_gt_i32_e64 s0, v11
	s_cbranch_execz .LBB81_5
; %bb.7:                                ;   in Loop: Header=BB81_6 Depth=1
	s_wait_kmcnt 0x0
	global_load_b32 v11, v11, s[4:5] scale_offset
	s_wait_loadcnt 0x0
	v_subrev_nc_u32_e32 v11, s10, v11
	s_delay_alu instid0(VALU_DEP_1) | instskip(SKIP_4) | instid1(VALU_DEP_1)
	v_lshl_or_b32 v11, v11, 2, v8
	global_load_b64 v[12:13], v11, s[12:13] scale_offset
	global_load_b64 v[14:15], v10, s[6:7] scale_offset
	s_wait_loadcnt 0x0
	v_pk_fma_f32 v[6:7], v[14:15], v[12:13], v[6:7] op_sel_hi:[1,0,1]
	v_pk_fma_f32 v[6:7], v[14:15], v[12:13], v[6:7] op_sel:[1,1,0] op_sel_hi:[0,1,1] neg_lo:[1,0,0]
	s_branch .LBB81_5
.LBB81_8:
	v_mov_b64_e32 v[6:7], 0
.LBB81_9:
	v_lshlrev_b32_e32 v10, 3, v0
	s_and_b32 vcc_lo, exec_lo, s11
	ds_store_b64 v10, v[6:7]
	s_wait_dscnt 0x0
	s_barrier_signal -1
	s_barrier_wait -1
	s_cbranch_vccz .LBB81_17
; %bb.10:
	s_mov_b32 s0, exec_lo
	v_cmpx_gt_u32_e32 2, v1
	s_cbranch_execz .LBB81_12
; %bb.11:
	ds_load_2addr_b64 v[12:15], v10 offset1:2
	s_wait_dscnt 0x0
	v_pk_add_f32 v[8:9], v[14:15], v[12:13]
	ds_store_b64 v10, v[8:9]
.LBB81_12:
	s_or_b32 exec_lo, exec_lo, s0
	s_delay_alu instid0(SALU_CYCLE_1)
	s_mov_b32 s0, exec_lo
	s_wait_dscnt 0x0
	s_barrier_signal -1
	s_barrier_wait -1
	v_cmpx_eq_u32_e32 0, v1
	s_cbranch_execz .LBB81_14
; %bb.13:
	ds_load_2addr_b64 v[12:15], v10 offset1:1
	s_wait_dscnt 0x0
	v_pk_add_f32 v[8:9], v[14:15], v[12:13]
	ds_store_b64 v10, v[8:9]
.LBB81_14:
	s_or_b32 exec_lo, exec_lo, s0
	v_mov_b64_e32 v[8:9], v[6:7]
	s_mov_b32 s0, exec_lo
	s_wait_dscnt 0x0
	s_barrier_signal -1
	s_barrier_wait -1
	v_cmpx_gt_u32_e32 14, v0
; %bb.15:
	v_mad_u32_u24 v1, v0, 24, v10
	ds_load_b64 v[8:9], v1
; %bb.16:
	s_or_b32 exec_lo, exec_lo, s0
	s_branch .LBB81_25
.LBB81_17:
                                        ; implicit-def: $vgpr8_vgpr9
	s_cbranch_execz .LBB81_25
; %bb.18:
	s_mov_b32 s0, exec_lo
	v_cmpx_gt_u32_e32 28, v0
	s_cbranch_execz .LBB81_20
; %bb.19:
	ds_load_2addr_b64 v[12:15], v10 offset1:28
	s_wait_dscnt 0x0
	v_pk_add_f32 v[8:9], v[14:15], v[12:13]
	ds_store_b64 v10, v[8:9]
.LBB81_20:
	s_or_b32 exec_lo, exec_lo, s0
	s_delay_alu instid0(SALU_CYCLE_1)
	s_mov_b32 s0, exec_lo
	s_wait_dscnt 0x0
	v_cmpx_lt_u32_e32 13, v0
	s_xor_b32 s0, exec_lo, s0
; %bb.21:
                                        ; implicit-def: $vgpr10
; %bb.22:
	s_delay_alu instid0(SALU_CYCLE_1)
	s_and_not1_saveexec_b32 s0, s0
	s_cbranch_execz .LBB81_24
; %bb.23:
	ds_load_2addr_b64 v[6:9], v10 offset1:14
	s_wait_dscnt 0x0
	v_pk_add_f32 v[6:7], v[8:9], v[6:7]
	ds_store_b64 v10, v[6:7]
	s_wait_dscnt 0x0
	ds_load_b64 v[6:7], v10
.LBB81_24:
	s_or_b32 exec_lo, exec_lo, s0
	s_wait_dscnt 0x0
	v_mov_b64_e32 v[8:9], v[6:7]
.LBB81_25:
	v_cmp_gt_u32_e32 vcc_lo, 14, v0
	s_and_b32 exec_lo, exec_lo, vcc_lo
	s_cbranch_execz .LBB81_30
; %bb.26:
	v_mad_u32 v6, s8, 14, v0
	v_cmp_eq_f32_e32 vcc_lo, 0, v4
	v_cmp_eq_f32_e64 s0, 0, v5
	v_xor_b32_e32 v0, 0x80000000, v3
	s_and_b32 s0, vcc_lo, s0
	s_delay_alu instid0(SALU_CYCLE_1) | instskip(NEXT) | instid1(SALU_CYCLE_1)
	s_and_saveexec_b32 s1, s0
	s_xor_b32 s0, exec_lo, s1
	s_cbranch_execz .LBB81_28
; %bb.27:
	v_mov_b32_e32 v1, v2
                                        ; implicit-def: $vgpr4_vgpr5
	s_wait_dscnt 0x0
	s_delay_alu instid0(VALU_DEP_1) | instskip(NEXT) | instid1(VALU_DEP_1)
	v_pk_mul_f32 v[0:1], v[8:9], v[0:1] op_sel:[1,0]
	v_pk_fma_f32 v[0:1], v[2:3], v[8:9], v[0:1] op_sel_hi:[1,0,1]
                                        ; implicit-def: $vgpr2_vgpr3
                                        ; implicit-def: $vgpr8_vgpr9
	global_store_b64 v6, v[0:1], s[2:3] scale_offset
                                        ; implicit-def: $vgpr6
                                        ; implicit-def: $vgpr0
.LBB81_28:
	s_wait_xcnt 0x0
	s_and_not1_saveexec_b32 s0, s0
	s_cbranch_execz .LBB81_30
; %bb.29:
	global_load_b64 v[10:11], v6, s[2:3] scale_offset
	v_mov_b32_e32 v1, v2
	s_wait_dscnt 0x0
	s_delay_alu instid0(VALU_DEP_1) | instskip(NEXT) | instid1(VALU_DEP_1)
	v_pk_mul_f32 v[0:1], v[8:9], v[0:1] op_sel:[1,0]
	v_pk_fma_f32 v[0:1], v[2:3], v[8:9], v[0:1] op_sel_hi:[1,0,1]
	v_xor_b32_e32 v2, 0x80000000, v5
	v_mov_b32_e32 v3, v4
	s_wait_loadcnt 0x0
	s_delay_alu instid0(VALU_DEP_3) | instskip(NEXT) | instid1(VALU_DEP_1)
	v_pk_fma_f32 v[0:1], v[4:5], v[10:11], v[0:1] op_sel_hi:[1,0,1]
	v_pk_fma_f32 v[0:1], v[2:3], v[10:11], v[0:1] op_sel:[0,1,0]
	global_store_b64 v6, v[0:1], s[2:3] scale_offset
.LBB81_30:
	s_endpgm
	.section	.rodata,"a",@progbits
	.p2align	6, 0x0
	.amdhsa_kernel _ZN9rocsparseL22gebsrmvn_mxn_16_kernelILj56ELj14ELj4E21rocsparse_complex_numIfEEEvi20rocsparse_direction_NS_24const_host_device_scalarIT2_EEPKiS8_PKS5_iiSA_S6_PS5_21rocsparse_index_base_b
		.amdhsa_group_segment_fixed_size 448
		.amdhsa_private_segment_fixed_size 0
		.amdhsa_kernarg_size 80
		.amdhsa_user_sgpr_count 2
		.amdhsa_user_sgpr_dispatch_ptr 0
		.amdhsa_user_sgpr_queue_ptr 0
		.amdhsa_user_sgpr_kernarg_segment_ptr 1
		.amdhsa_user_sgpr_dispatch_id 0
		.amdhsa_user_sgpr_kernarg_preload_length 0
		.amdhsa_user_sgpr_kernarg_preload_offset 0
		.amdhsa_user_sgpr_private_segment_size 0
		.amdhsa_wavefront_size32 1
		.amdhsa_uses_dynamic_stack 0
		.amdhsa_enable_private_segment 0
		.amdhsa_system_sgpr_workgroup_id_x 1
		.amdhsa_system_sgpr_workgroup_id_y 0
		.amdhsa_system_sgpr_workgroup_id_z 0
		.amdhsa_system_sgpr_workgroup_info 0
		.amdhsa_system_vgpr_workitem_id 0
		.amdhsa_next_free_vgpr 16
		.amdhsa_next_free_sgpr 16
		.amdhsa_named_barrier_count 0
		.amdhsa_reserve_vcc 1
		.amdhsa_float_round_mode_32 0
		.amdhsa_float_round_mode_16_64 0
		.amdhsa_float_denorm_mode_32 3
		.amdhsa_float_denorm_mode_16_64 3
		.amdhsa_fp16_overflow 0
		.amdhsa_memory_ordered 1
		.amdhsa_forward_progress 1
		.amdhsa_inst_pref_size 9
		.amdhsa_round_robin_scheduling 0
		.amdhsa_exception_fp_ieee_invalid_op 0
		.amdhsa_exception_fp_denorm_src 0
		.amdhsa_exception_fp_ieee_div_zero 0
		.amdhsa_exception_fp_ieee_overflow 0
		.amdhsa_exception_fp_ieee_underflow 0
		.amdhsa_exception_fp_ieee_inexact 0
		.amdhsa_exception_int_div_zero 0
	.end_amdhsa_kernel
	.section	.text._ZN9rocsparseL22gebsrmvn_mxn_16_kernelILj56ELj14ELj4E21rocsparse_complex_numIfEEEvi20rocsparse_direction_NS_24const_host_device_scalarIT2_EEPKiS8_PKS5_iiSA_S6_PS5_21rocsparse_index_base_b,"axG",@progbits,_ZN9rocsparseL22gebsrmvn_mxn_16_kernelILj56ELj14ELj4E21rocsparse_complex_numIfEEEvi20rocsparse_direction_NS_24const_host_device_scalarIT2_EEPKiS8_PKS5_iiSA_S6_PS5_21rocsparse_index_base_b,comdat
.Lfunc_end81:
	.size	_ZN9rocsparseL22gebsrmvn_mxn_16_kernelILj56ELj14ELj4E21rocsparse_complex_numIfEEEvi20rocsparse_direction_NS_24const_host_device_scalarIT2_EEPKiS8_PKS5_iiSA_S6_PS5_21rocsparse_index_base_b, .Lfunc_end81-_ZN9rocsparseL22gebsrmvn_mxn_16_kernelILj56ELj14ELj4E21rocsparse_complex_numIfEEEvi20rocsparse_direction_NS_24const_host_device_scalarIT2_EEPKiS8_PKS5_iiSA_S6_PS5_21rocsparse_index_base_b
                                        ; -- End function
	.set _ZN9rocsparseL22gebsrmvn_mxn_16_kernelILj56ELj14ELj4E21rocsparse_complex_numIfEEEvi20rocsparse_direction_NS_24const_host_device_scalarIT2_EEPKiS8_PKS5_iiSA_S6_PS5_21rocsparse_index_base_b.num_vgpr, 16
	.set _ZN9rocsparseL22gebsrmvn_mxn_16_kernelILj56ELj14ELj4E21rocsparse_complex_numIfEEEvi20rocsparse_direction_NS_24const_host_device_scalarIT2_EEPKiS8_PKS5_iiSA_S6_PS5_21rocsparse_index_base_b.num_agpr, 0
	.set _ZN9rocsparseL22gebsrmvn_mxn_16_kernelILj56ELj14ELj4E21rocsparse_complex_numIfEEEvi20rocsparse_direction_NS_24const_host_device_scalarIT2_EEPKiS8_PKS5_iiSA_S6_PS5_21rocsparse_index_base_b.numbered_sgpr, 16
	.set _ZN9rocsparseL22gebsrmvn_mxn_16_kernelILj56ELj14ELj4E21rocsparse_complex_numIfEEEvi20rocsparse_direction_NS_24const_host_device_scalarIT2_EEPKiS8_PKS5_iiSA_S6_PS5_21rocsparse_index_base_b.num_named_barrier, 0
	.set _ZN9rocsparseL22gebsrmvn_mxn_16_kernelILj56ELj14ELj4E21rocsparse_complex_numIfEEEvi20rocsparse_direction_NS_24const_host_device_scalarIT2_EEPKiS8_PKS5_iiSA_S6_PS5_21rocsparse_index_base_b.private_seg_size, 0
	.set _ZN9rocsparseL22gebsrmvn_mxn_16_kernelILj56ELj14ELj4E21rocsparse_complex_numIfEEEvi20rocsparse_direction_NS_24const_host_device_scalarIT2_EEPKiS8_PKS5_iiSA_S6_PS5_21rocsparse_index_base_b.uses_vcc, 1
	.set _ZN9rocsparseL22gebsrmvn_mxn_16_kernelILj56ELj14ELj4E21rocsparse_complex_numIfEEEvi20rocsparse_direction_NS_24const_host_device_scalarIT2_EEPKiS8_PKS5_iiSA_S6_PS5_21rocsparse_index_base_b.uses_flat_scratch, 1
	.set _ZN9rocsparseL22gebsrmvn_mxn_16_kernelILj56ELj14ELj4E21rocsparse_complex_numIfEEEvi20rocsparse_direction_NS_24const_host_device_scalarIT2_EEPKiS8_PKS5_iiSA_S6_PS5_21rocsparse_index_base_b.has_dyn_sized_stack, 0
	.set _ZN9rocsparseL22gebsrmvn_mxn_16_kernelILj56ELj14ELj4E21rocsparse_complex_numIfEEEvi20rocsparse_direction_NS_24const_host_device_scalarIT2_EEPKiS8_PKS5_iiSA_S6_PS5_21rocsparse_index_base_b.has_recursion, 0
	.set _ZN9rocsparseL22gebsrmvn_mxn_16_kernelILj56ELj14ELj4E21rocsparse_complex_numIfEEEvi20rocsparse_direction_NS_24const_host_device_scalarIT2_EEPKiS8_PKS5_iiSA_S6_PS5_21rocsparse_index_base_b.has_indirect_call, 0
	.section	.AMDGPU.csdata,"",@progbits
; Kernel info:
; codeLenInByte = 1044
; TotalNumSgprs: 18
; NumVgprs: 16
; ScratchSize: 0
; MemoryBound: 0
; FloatMode: 240
; IeeeMode: 1
; LDSByteSize: 448 bytes/workgroup (compile time only)
; SGPRBlocks: 0
; VGPRBlocks: 0
; NumSGPRsForWavesPerEU: 18
; NumVGPRsForWavesPerEU: 16
; NamedBarCnt: 0
; Occupancy: 16
; WaveLimiterHint : 1
; COMPUTE_PGM_RSRC2:SCRATCH_EN: 0
; COMPUTE_PGM_RSRC2:USER_SGPR: 2
; COMPUTE_PGM_RSRC2:TRAP_HANDLER: 0
; COMPUTE_PGM_RSRC2:TGID_X_EN: 1
; COMPUTE_PGM_RSRC2:TGID_Y_EN: 0
; COMPUTE_PGM_RSRC2:TGID_Z_EN: 0
; COMPUTE_PGM_RSRC2:TIDIG_COMP_CNT: 0
	.section	.text._ZN9rocsparseL22gebsrmvn_mxn_16_kernelILj70ELj14ELj5E21rocsparse_complex_numIfEEEvi20rocsparse_direction_NS_24const_host_device_scalarIT2_EEPKiS8_PKS5_iiSA_S6_PS5_21rocsparse_index_base_b,"axG",@progbits,_ZN9rocsparseL22gebsrmvn_mxn_16_kernelILj70ELj14ELj5E21rocsparse_complex_numIfEEEvi20rocsparse_direction_NS_24const_host_device_scalarIT2_EEPKiS8_PKS5_iiSA_S6_PS5_21rocsparse_index_base_b,comdat
	.globl	_ZN9rocsparseL22gebsrmvn_mxn_16_kernelILj70ELj14ELj5E21rocsparse_complex_numIfEEEvi20rocsparse_direction_NS_24const_host_device_scalarIT2_EEPKiS8_PKS5_iiSA_S6_PS5_21rocsparse_index_base_b ; -- Begin function _ZN9rocsparseL22gebsrmvn_mxn_16_kernelILj70ELj14ELj5E21rocsparse_complex_numIfEEEvi20rocsparse_direction_NS_24const_host_device_scalarIT2_EEPKiS8_PKS5_iiSA_S6_PS5_21rocsparse_index_base_b
	.p2align	8
	.type	_ZN9rocsparseL22gebsrmvn_mxn_16_kernelILj70ELj14ELj5E21rocsparse_complex_numIfEEEvi20rocsparse_direction_NS_24const_host_device_scalarIT2_EEPKiS8_PKS5_iiSA_S6_PS5_21rocsparse_index_base_b,@function
_ZN9rocsparseL22gebsrmvn_mxn_16_kernelILj70ELj14ELj5E21rocsparse_complex_numIfEEEvi20rocsparse_direction_NS_24const_host_device_scalarIT2_EEPKiS8_PKS5_iiSA_S6_PS5_21rocsparse_index_base_b: ; @_ZN9rocsparseL22gebsrmvn_mxn_16_kernelILj70ELj14ELj5E21rocsparse_complex_numIfEEEvi20rocsparse_direction_NS_24const_host_device_scalarIT2_EEPKiS8_PKS5_iiSA_S6_PS5_21rocsparse_index_base_b
; %bb.0:
	s_clause 0x2
	s_load_b64 s[10:11], s[0:1], 0x48
	s_load_b64 s[2:3], s[0:1], 0x8
	;; [unrolled: 1-line block ×3, first 2 shown]
	v_mov_b32_e32 v1, 0
	s_add_nc_u64 s[6:7], s[0:1], 8
	s_add_nc_u64 s[8:9], s[0:1], 56
	s_wait_kmcnt 0x0
	s_bitcmp1_b32 s11, 0
	s_cselect_b32 s3, s7, s3
	s_cselect_b32 s2, s6, s2
	;; [unrolled: 1-line block ×4, first 2 shown]
	s_clause 0x1
	flat_load_b64 v[2:3], v1, s[2:3]
	flat_load_b64 v[4:5], v1, s[4:5]
	s_wait_loadcnt_dscnt 0x101
	v_cmp_eq_f32_e32 vcc_lo, 0, v2
	v_cmp_eq_f32_e64 s2, 0, v3
	s_wait_loadcnt_dscnt 0x0
	v_cmp_eq_f32_e64 s3, 1.0, v4
	v_cmp_eq_f32_e64 s4, 0, v5
	s_and_b32 s2, vcc_lo, s2
	s_and_b32 s3, s3, s4
	s_delay_alu instid0(SALU_CYCLE_1) | instskip(NEXT) | instid1(SALU_CYCLE_1)
	s_and_b32 s2, s2, s3
	s_xor_b32 s2, s2, -1
	s_delay_alu instid0(SALU_CYCLE_1)
	s_and_saveexec_b32 s3, s2
	s_cbranch_execz .LBB82_34
; %bb.1:
	v_mul_u32_u24_e32 v1, 0x3334, v0
	s_clause 0x1
	s_load_b32 s4, s[0:1], 0x4
	s_load_b64 s[2:3], s[0:1], 0x10
	v_and_b32_e32 v6, 0xffff, v0
	v_lshrrev_b32_e32 v1, 16, v1
	s_delay_alu instid0(VALU_DEP_1) | instskip(NEXT) | instid1(VALU_DEP_1)
	v_mul_lo_u16 v1, v1, 5
	v_sub_nc_u16 v1, v0, v1
	s_delay_alu instid0(VALU_DEP_1) | instskip(SKIP_3) | instid1(SALU_CYCLE_1)
	v_and_b32_e32 v8, 0xffff, v1
	s_wait_kmcnt 0x0
	s_cmp_lg_u32 s4, 1
	s_cselect_b32 s11, -1, 0
	s_and_b32 vcc_lo, exec_lo, s11
	v_mov_b32_e32 v1, v8
	s_cbranch_vccnz .LBB82_3
; %bb.2:
	v_mul_u32_u24_e32 v1, 0x124a, v6
	s_delay_alu instid0(VALU_DEP_1) | instskip(NEXT) | instid1(VALU_DEP_1)
	v_lshrrev_b32_e32 v1, 16, v1
	v_mul_lo_u16 v7, v1, 52
	s_delay_alu instid0(VALU_DEP_1) | instskip(NEXT) | instid1(VALU_DEP_1)
	v_lshrrev_b16 v7, 8, v7
	v_mul_lo_u16 v7, v7, 5
	s_delay_alu instid0(VALU_DEP_1) | instskip(NEXT) | instid1(VALU_DEP_1)
	v_sub_nc_u16 v1, v1, v7
	v_and_b32_e32 v1, 0xff, v1
.LBB82_3:
	s_bfe_u32 s4, ttmp6, 0x4000c
	s_and_b32 s5, ttmp6, 15
	s_add_co_i32 s4, s4, 1
	s_getreg_b32 s6, hwreg(HW_REG_IB_STS2, 6, 4)
	s_mul_i32 s4, ttmp9, s4
	s_delay_alu instid0(SALU_CYCLE_1) | instskip(SKIP_2) | instid1(SALU_CYCLE_1)
	s_add_co_i32 s5, s5, s4
	s_cmp_eq_u32 s6, 0
	s_cselect_b32 s8, ttmp9, s5
	s_ashr_i32 s9, s8, 31
	s_delay_alu instid0(SALU_CYCLE_1) | instskip(NEXT) | instid1(SALU_CYCLE_1)
	s_lshl_b64 s[4:5], s[8:9], 2
	s_add_nc_u64 s[4:5], s[2:3], s[4:5]
	s_load_b64 s[14:15], s[4:5], 0x0
	s_load_b64 s[2:3], s[0:1], 0x40
	s_wait_kmcnt 0x0
	s_cmp_ge_i32 s14, s15
	s_cbranch_scc1 .LBB82_8
; %bb.4:
	s_clause 0x1
	s_load_b128 s[4:7], s[0:1], 0x18
	s_load_b64 s[12:13], s[0:1], 0x30
	v_mad_u32 v10, 0x46, s14, v0
	v_mul_u32_u24_e32 v9, 0x3a9, v6
	s_wait_xcnt 0x0
	s_mul_i32 s0, s10, 0x46
	v_mov_b64_e32 v[6:7], 0
	s_sub_co_i32 s1, s14, s10
	v_lshrrev_b32_e32 v9, 16, v9
	s_delay_alu instid0(VALU_DEP_4)
	v_subrev_nc_u32_e32 v10, s0, v10
	s_sub_co_i32 s0, s15, s10
	s_branch .LBB82_6
.LBB82_5:                               ;   in Loop: Header=BB82_6 Depth=1
	s_or_b32 exec_lo, exec_lo, s9
	v_add_nc_u32_e32 v10, 0x46, v10
	s_add_co_i32 s1, s1, 1
	s_delay_alu instid0(SALU_CYCLE_1)
	s_cmp_ge_i32 s1, s0
	s_cbranch_scc1 .LBB82_9
.LBB82_6:                               ; =>This Inner Loop Header: Depth=1
	s_delay_alu instid0(VALU_DEP_2) | instskip(SKIP_1) | instid1(VALU_DEP_1)
	v_add_nc_u32_e32 v11, s1, v9
	s_mov_b32 s9, exec_lo
	v_cmpx_gt_i32_e64 s0, v11
	s_cbranch_execz .LBB82_5
; %bb.7:                                ;   in Loop: Header=BB82_6 Depth=1
	s_wait_kmcnt 0x0
	global_load_b32 v11, v11, s[4:5] scale_offset
	s_wait_loadcnt 0x0
	v_subrev_nc_u32_e32 v11, s10, v11
	s_delay_alu instid0(VALU_DEP_1) | instskip(SKIP_4) | instid1(VALU_DEP_1)
	v_mad_u32 v11, v11, 5, v1
	global_load_b64 v[12:13], v11, s[12:13] scale_offset
	global_load_b64 v[14:15], v10, s[6:7] scale_offset
	s_wait_loadcnt 0x0
	v_pk_fma_f32 v[6:7], v[14:15], v[12:13], v[6:7] op_sel_hi:[1,0,1]
	v_pk_fma_f32 v[6:7], v[14:15], v[12:13], v[6:7] op_sel:[1,1,0] op_sel_hi:[0,1,1] neg_lo:[1,0,0]
	s_branch .LBB82_5
.LBB82_8:
	v_mov_b64_e32 v[6:7], 0
.LBB82_9:
	v_lshlrev_b32_e32 v1, 3, v0
	s_and_b32 vcc_lo, exec_lo, s11
	ds_store_b64 v1, v[6:7]
	s_wait_dscnt 0x0
	s_barrier_signal -1
	s_barrier_wait -1
	s_cbranch_vccz .LBB82_19
; %bb.10:
	v_cmp_eq_u16_e32 vcc_lo, 0, v8
	s_and_saveexec_b32 s0, vcc_lo
	s_cbranch_execz .LBB82_12
; %bb.11:
	ds_load_2addr_b64 v[10:13], v1 offset1:4
	s_wait_dscnt 0x0
	v_pk_add_f32 v[10:11], v[12:13], v[10:11]
	ds_store_b64 v1, v[10:11]
.LBB82_12:
	s_or_b32 exec_lo, exec_lo, s0
	s_delay_alu instid0(SALU_CYCLE_1)
	s_mov_b32 s1, exec_lo
	s_wait_dscnt 0x0
	s_barrier_signal -1
	s_barrier_wait -1
	v_cmpx_gt_u16_e32 2, v8
	s_cbranch_execz .LBB82_14
; %bb.13:
	ds_load_2addr_b64 v[8:11], v1 offset1:2
	s_wait_dscnt 0x0
	v_pk_add_f32 v[8:9], v[10:11], v[8:9]
	ds_store_b64 v1, v[8:9]
.LBB82_14:
	s_or_b32 exec_lo, exec_lo, s1
	s_wait_dscnt 0x0
	s_barrier_signal -1
	s_barrier_wait -1
	s_and_saveexec_b32 s0, vcc_lo
	s_cbranch_execz .LBB82_16
; %bb.15:
	ds_load_2addr_b64 v[8:11], v1 offset1:1
	s_wait_dscnt 0x0
	v_pk_add_f32 v[8:9], v[10:11], v[8:9]
	ds_store_b64 v1, v[8:9]
.LBB82_16:
	s_or_b32 exec_lo, exec_lo, s0
	v_mov_b64_e32 v[8:9], v[6:7]
	s_mov_b32 s0, exec_lo
	s_wait_dscnt 0x0
	s_barrier_signal -1
	s_barrier_wait -1
	v_cmpx_gt_u32_e32 14, v0
; %bb.17:
	v_lshl_add_u32 v8, v0, 5, v1
	ds_load_b64 v[8:9], v8
; %bb.18:
	s_or_b32 exec_lo, exec_lo, s0
	v_cmp_gt_u32_e64 s0, 14, v0
	s_branch .LBB82_29
.LBB82_19:
                                        ; implicit-def: $vgpr8_vgpr9
	v_cmp_gt_u32_e64 s0, 14, v0
	s_cbranch_execz .LBB82_29
; %bb.20:
	v_cmp_lt_u32_e32 vcc_lo, 13, v0
	s_and_saveexec_b32 s1, s0
	s_cbranch_execz .LBB82_22
; %bb.21:
	s_wait_dscnt 0x0
	ds_load_2addr_b64 v[8:11], v1 offset1:56
	s_wait_dscnt 0x0
	v_pk_add_f32 v[8:9], v[10:11], v[8:9]
	ds_store_b64 v1, v[8:9]
.LBB82_22:
	s_or_b32 exec_lo, exec_lo, s1
	s_delay_alu instid0(SALU_CYCLE_1)
	s_mov_b32 s1, exec_lo
	s_wait_dscnt 0x0
	s_barrier_signal -1
	s_barrier_wait -1
	v_cmpx_gt_u32_e32 28, v0
	s_cbranch_execz .LBB82_24
; %bb.23:
	ds_load_2addr_b64 v[8:11], v1 offset1:28
	s_wait_dscnt 0x0
	v_pk_add_f32 v[8:9], v[10:11], v[8:9]
	ds_store_b64 v1, v[8:9]
.LBB82_24:
	s_or_b32 exec_lo, exec_lo, s1
	s_wait_dscnt 0x0
	s_and_saveexec_b32 s0, vcc_lo
	s_delay_alu instid0(SALU_CYCLE_1)
	s_xor_b32 s0, exec_lo, s0
; %bb.25:
                                        ; implicit-def: $vgpr1
; %bb.26:
	s_delay_alu instid0(SALU_CYCLE_1)
	s_and_not1_saveexec_b32 s0, s0
	s_cbranch_execz .LBB82_28
; %bb.27:
	ds_load_2addr_b64 v[6:9], v1 offset1:14
	s_wait_dscnt 0x0
	v_pk_add_f32 v[6:7], v[8:9], v[6:7]
	ds_store_b64 v1, v[6:7]
	s_wait_dscnt 0x0
	ds_load_b64 v[6:7], v1
.LBB82_28:
	s_or_b32 exec_lo, exec_lo, s0
	s_wait_dscnt 0x0
	v_mov_b64_e32 v[8:9], v[6:7]
.LBB82_29:
	v_cmp_gt_u32_e32 vcc_lo, 14, v0
	s_and_b32 exec_lo, exec_lo, vcc_lo
	s_cbranch_execz .LBB82_34
; %bb.30:
	v_mad_u32 v6, s8, 14, v0
	v_cmp_eq_f32_e32 vcc_lo, 0, v4
	v_cmp_eq_f32_e64 s0, 0, v5
	v_xor_b32_e32 v0, 0x80000000, v3
	s_and_b32 s0, vcc_lo, s0
	s_delay_alu instid0(SALU_CYCLE_1) | instskip(NEXT) | instid1(SALU_CYCLE_1)
	s_and_saveexec_b32 s1, s0
	s_xor_b32 s0, exec_lo, s1
	s_cbranch_execz .LBB82_32
; %bb.31:
	v_mov_b32_e32 v1, v2
                                        ; implicit-def: $vgpr4_vgpr5
	s_wait_dscnt 0x0
	s_delay_alu instid0(VALU_DEP_1) | instskip(NEXT) | instid1(VALU_DEP_1)
	v_pk_mul_f32 v[0:1], v[8:9], v[0:1] op_sel:[1,0]
	v_pk_fma_f32 v[0:1], v[2:3], v[8:9], v[0:1] op_sel_hi:[1,0,1]
                                        ; implicit-def: $vgpr2_vgpr3
                                        ; implicit-def: $vgpr8_vgpr9
	global_store_b64 v6, v[0:1], s[2:3] scale_offset
                                        ; implicit-def: $vgpr6
                                        ; implicit-def: $vgpr0
.LBB82_32:
	s_wait_xcnt 0x0
	s_and_not1_saveexec_b32 s0, s0
	s_cbranch_execz .LBB82_34
; %bb.33:
	global_load_b64 v[10:11], v6, s[2:3] scale_offset
	v_mov_b32_e32 v1, v2
	s_wait_dscnt 0x0
	s_delay_alu instid0(VALU_DEP_1) | instskip(NEXT) | instid1(VALU_DEP_1)
	v_pk_mul_f32 v[0:1], v[8:9], v[0:1] op_sel:[1,0]
	v_pk_fma_f32 v[0:1], v[2:3], v[8:9], v[0:1] op_sel_hi:[1,0,1]
	v_xor_b32_e32 v2, 0x80000000, v5
	v_mov_b32_e32 v3, v4
	s_wait_loadcnt 0x0
	s_delay_alu instid0(VALU_DEP_3) | instskip(NEXT) | instid1(VALU_DEP_1)
	v_pk_fma_f32 v[0:1], v[4:5], v[10:11], v[0:1] op_sel_hi:[1,0,1]
	v_pk_fma_f32 v[0:1], v[2:3], v[10:11], v[0:1] op_sel:[0,1,0]
	global_store_b64 v6, v[0:1], s[2:3] scale_offset
.LBB82_34:
	s_endpgm
	.section	.rodata,"a",@progbits
	.p2align	6, 0x0
	.amdhsa_kernel _ZN9rocsparseL22gebsrmvn_mxn_16_kernelILj70ELj14ELj5E21rocsparse_complex_numIfEEEvi20rocsparse_direction_NS_24const_host_device_scalarIT2_EEPKiS8_PKS5_iiSA_S6_PS5_21rocsparse_index_base_b
		.amdhsa_group_segment_fixed_size 560
		.amdhsa_private_segment_fixed_size 0
		.amdhsa_kernarg_size 80
		.amdhsa_user_sgpr_count 2
		.amdhsa_user_sgpr_dispatch_ptr 0
		.amdhsa_user_sgpr_queue_ptr 0
		.amdhsa_user_sgpr_kernarg_segment_ptr 1
		.amdhsa_user_sgpr_dispatch_id 0
		.amdhsa_user_sgpr_kernarg_preload_length 0
		.amdhsa_user_sgpr_kernarg_preload_offset 0
		.amdhsa_user_sgpr_private_segment_size 0
		.amdhsa_wavefront_size32 1
		.amdhsa_uses_dynamic_stack 0
		.amdhsa_enable_private_segment 0
		.amdhsa_system_sgpr_workgroup_id_x 1
		.amdhsa_system_sgpr_workgroup_id_y 0
		.amdhsa_system_sgpr_workgroup_id_z 0
		.amdhsa_system_sgpr_workgroup_info 0
		.amdhsa_system_vgpr_workitem_id 0
		.amdhsa_next_free_vgpr 16
		.amdhsa_next_free_sgpr 16
		.amdhsa_named_barrier_count 0
		.amdhsa_reserve_vcc 1
		.amdhsa_float_round_mode_32 0
		.amdhsa_float_round_mode_16_64 0
		.amdhsa_float_denorm_mode_32 3
		.amdhsa_float_denorm_mode_16_64 3
		.amdhsa_fp16_overflow 0
		.amdhsa_memory_ordered 1
		.amdhsa_forward_progress 1
		.amdhsa_inst_pref_size 10
		.amdhsa_round_robin_scheduling 0
		.amdhsa_exception_fp_ieee_invalid_op 0
		.amdhsa_exception_fp_denorm_src 0
		.amdhsa_exception_fp_ieee_div_zero 0
		.amdhsa_exception_fp_ieee_overflow 0
		.amdhsa_exception_fp_ieee_underflow 0
		.amdhsa_exception_fp_ieee_inexact 0
		.amdhsa_exception_int_div_zero 0
	.end_amdhsa_kernel
	.section	.text._ZN9rocsparseL22gebsrmvn_mxn_16_kernelILj70ELj14ELj5E21rocsparse_complex_numIfEEEvi20rocsparse_direction_NS_24const_host_device_scalarIT2_EEPKiS8_PKS5_iiSA_S6_PS5_21rocsparse_index_base_b,"axG",@progbits,_ZN9rocsparseL22gebsrmvn_mxn_16_kernelILj70ELj14ELj5E21rocsparse_complex_numIfEEEvi20rocsparse_direction_NS_24const_host_device_scalarIT2_EEPKiS8_PKS5_iiSA_S6_PS5_21rocsparse_index_base_b,comdat
.Lfunc_end82:
	.size	_ZN9rocsparseL22gebsrmvn_mxn_16_kernelILj70ELj14ELj5E21rocsparse_complex_numIfEEEvi20rocsparse_direction_NS_24const_host_device_scalarIT2_EEPKiS8_PKS5_iiSA_S6_PS5_21rocsparse_index_base_b, .Lfunc_end82-_ZN9rocsparseL22gebsrmvn_mxn_16_kernelILj70ELj14ELj5E21rocsparse_complex_numIfEEEvi20rocsparse_direction_NS_24const_host_device_scalarIT2_EEPKiS8_PKS5_iiSA_S6_PS5_21rocsparse_index_base_b
                                        ; -- End function
	.set _ZN9rocsparseL22gebsrmvn_mxn_16_kernelILj70ELj14ELj5E21rocsparse_complex_numIfEEEvi20rocsparse_direction_NS_24const_host_device_scalarIT2_EEPKiS8_PKS5_iiSA_S6_PS5_21rocsparse_index_base_b.num_vgpr, 16
	.set _ZN9rocsparseL22gebsrmvn_mxn_16_kernelILj70ELj14ELj5E21rocsparse_complex_numIfEEEvi20rocsparse_direction_NS_24const_host_device_scalarIT2_EEPKiS8_PKS5_iiSA_S6_PS5_21rocsparse_index_base_b.num_agpr, 0
	.set _ZN9rocsparseL22gebsrmvn_mxn_16_kernelILj70ELj14ELj5E21rocsparse_complex_numIfEEEvi20rocsparse_direction_NS_24const_host_device_scalarIT2_EEPKiS8_PKS5_iiSA_S6_PS5_21rocsparse_index_base_b.numbered_sgpr, 16
	.set _ZN9rocsparseL22gebsrmvn_mxn_16_kernelILj70ELj14ELj5E21rocsparse_complex_numIfEEEvi20rocsparse_direction_NS_24const_host_device_scalarIT2_EEPKiS8_PKS5_iiSA_S6_PS5_21rocsparse_index_base_b.num_named_barrier, 0
	.set _ZN9rocsparseL22gebsrmvn_mxn_16_kernelILj70ELj14ELj5E21rocsparse_complex_numIfEEEvi20rocsparse_direction_NS_24const_host_device_scalarIT2_EEPKiS8_PKS5_iiSA_S6_PS5_21rocsparse_index_base_b.private_seg_size, 0
	.set _ZN9rocsparseL22gebsrmvn_mxn_16_kernelILj70ELj14ELj5E21rocsparse_complex_numIfEEEvi20rocsparse_direction_NS_24const_host_device_scalarIT2_EEPKiS8_PKS5_iiSA_S6_PS5_21rocsparse_index_base_b.uses_vcc, 1
	.set _ZN9rocsparseL22gebsrmvn_mxn_16_kernelILj70ELj14ELj5E21rocsparse_complex_numIfEEEvi20rocsparse_direction_NS_24const_host_device_scalarIT2_EEPKiS8_PKS5_iiSA_S6_PS5_21rocsparse_index_base_b.uses_flat_scratch, 1
	.set _ZN9rocsparseL22gebsrmvn_mxn_16_kernelILj70ELj14ELj5E21rocsparse_complex_numIfEEEvi20rocsparse_direction_NS_24const_host_device_scalarIT2_EEPKiS8_PKS5_iiSA_S6_PS5_21rocsparse_index_base_b.has_dyn_sized_stack, 0
	.set _ZN9rocsparseL22gebsrmvn_mxn_16_kernelILj70ELj14ELj5E21rocsparse_complex_numIfEEEvi20rocsparse_direction_NS_24const_host_device_scalarIT2_EEPKiS8_PKS5_iiSA_S6_PS5_21rocsparse_index_base_b.has_recursion, 0
	.set _ZN9rocsparseL22gebsrmvn_mxn_16_kernelILj70ELj14ELj5E21rocsparse_complex_numIfEEEvi20rocsparse_direction_NS_24const_host_device_scalarIT2_EEPKiS8_PKS5_iiSA_S6_PS5_21rocsparse_index_base_b.has_indirect_call, 0
	.section	.AMDGPU.csdata,"",@progbits
; Kernel info:
; codeLenInByte = 1272
; TotalNumSgprs: 18
; NumVgprs: 16
; ScratchSize: 0
; MemoryBound: 0
; FloatMode: 240
; IeeeMode: 1
; LDSByteSize: 560 bytes/workgroup (compile time only)
; SGPRBlocks: 0
; VGPRBlocks: 0
; NumSGPRsForWavesPerEU: 18
; NumVGPRsForWavesPerEU: 16
; NamedBarCnt: 0
; Occupancy: 16
; WaveLimiterHint : 1
; COMPUTE_PGM_RSRC2:SCRATCH_EN: 0
; COMPUTE_PGM_RSRC2:USER_SGPR: 2
; COMPUTE_PGM_RSRC2:TRAP_HANDLER: 0
; COMPUTE_PGM_RSRC2:TGID_X_EN: 1
; COMPUTE_PGM_RSRC2:TGID_Y_EN: 0
; COMPUTE_PGM_RSRC2:TGID_Z_EN: 0
; COMPUTE_PGM_RSRC2:TIDIG_COMP_CNT: 0
	.section	.text._ZN9rocsparseL22gebsrmvn_mxn_16_kernelILj84ELj14ELj6E21rocsparse_complex_numIfEEEvi20rocsparse_direction_NS_24const_host_device_scalarIT2_EEPKiS8_PKS5_iiSA_S6_PS5_21rocsparse_index_base_b,"axG",@progbits,_ZN9rocsparseL22gebsrmvn_mxn_16_kernelILj84ELj14ELj6E21rocsparse_complex_numIfEEEvi20rocsparse_direction_NS_24const_host_device_scalarIT2_EEPKiS8_PKS5_iiSA_S6_PS5_21rocsparse_index_base_b,comdat
	.globl	_ZN9rocsparseL22gebsrmvn_mxn_16_kernelILj84ELj14ELj6E21rocsparse_complex_numIfEEEvi20rocsparse_direction_NS_24const_host_device_scalarIT2_EEPKiS8_PKS5_iiSA_S6_PS5_21rocsparse_index_base_b ; -- Begin function _ZN9rocsparseL22gebsrmvn_mxn_16_kernelILj84ELj14ELj6E21rocsparse_complex_numIfEEEvi20rocsparse_direction_NS_24const_host_device_scalarIT2_EEPKiS8_PKS5_iiSA_S6_PS5_21rocsparse_index_base_b
	.p2align	8
	.type	_ZN9rocsparseL22gebsrmvn_mxn_16_kernelILj84ELj14ELj6E21rocsparse_complex_numIfEEEvi20rocsparse_direction_NS_24const_host_device_scalarIT2_EEPKiS8_PKS5_iiSA_S6_PS5_21rocsparse_index_base_b,@function
_ZN9rocsparseL22gebsrmvn_mxn_16_kernelILj84ELj14ELj6E21rocsparse_complex_numIfEEEvi20rocsparse_direction_NS_24const_host_device_scalarIT2_EEPKiS8_PKS5_iiSA_S6_PS5_21rocsparse_index_base_b: ; @_ZN9rocsparseL22gebsrmvn_mxn_16_kernelILj84ELj14ELj6E21rocsparse_complex_numIfEEEvi20rocsparse_direction_NS_24const_host_device_scalarIT2_EEPKiS8_PKS5_iiSA_S6_PS5_21rocsparse_index_base_b
; %bb.0:
	s_clause 0x2
	s_load_b64 s[10:11], s[0:1], 0x48
	s_load_b64 s[2:3], s[0:1], 0x8
	;; [unrolled: 1-line block ×3, first 2 shown]
	v_mov_b32_e32 v1, 0
	s_add_nc_u64 s[6:7], s[0:1], 8
	s_add_nc_u64 s[8:9], s[0:1], 56
	s_wait_kmcnt 0x0
	s_bitcmp1_b32 s11, 0
	s_cselect_b32 s3, s7, s3
	s_cselect_b32 s2, s6, s2
	;; [unrolled: 1-line block ×4, first 2 shown]
	s_clause 0x1
	flat_load_b64 v[2:3], v1, s[2:3]
	flat_load_b64 v[4:5], v1, s[4:5]
	s_wait_loadcnt_dscnt 0x101
	v_cmp_eq_f32_e32 vcc_lo, 0, v2
	v_cmp_eq_f32_e64 s2, 0, v3
	s_wait_loadcnt_dscnt 0x0
	v_cmp_eq_f32_e64 s3, 1.0, v4
	v_cmp_eq_f32_e64 s4, 0, v5
	s_and_b32 s2, vcc_lo, s2
	s_and_b32 s3, s3, s4
	s_delay_alu instid0(SALU_CYCLE_1) | instskip(NEXT) | instid1(SALU_CYCLE_1)
	s_and_b32 s2, s2, s3
	s_xor_b32 s2, s2, -1
	s_delay_alu instid0(SALU_CYCLE_1)
	s_and_saveexec_b32 s3, s2
	s_cbranch_execz .LBB83_34
; %bb.1:
	v_mul_u32_u24_e32 v1, 0x2aab, v0
	s_clause 0x1
	s_load_b32 s4, s[0:1], 0x4
	s_load_b64 s[2:3], s[0:1], 0x10
	v_and_b32_e32 v6, 0xffff, v0
	v_lshrrev_b32_e32 v1, 16, v1
	s_delay_alu instid0(VALU_DEP_1) | instskip(NEXT) | instid1(VALU_DEP_1)
	v_mul_lo_u16 v1, v1, 6
	v_sub_nc_u16 v1, v0, v1
	s_delay_alu instid0(VALU_DEP_1) | instskip(SKIP_3) | instid1(SALU_CYCLE_1)
	v_and_b32_e32 v8, 0xffff, v1
	s_wait_kmcnt 0x0
	s_cmp_lg_u32 s4, 1
	s_cselect_b32 s11, -1, 0
	s_and_b32 vcc_lo, exec_lo, s11
	v_mov_b32_e32 v1, v8
	s_cbranch_vccnz .LBB83_3
; %bb.2:
	v_mul_u32_u24_e32 v1, 0x124a, v6
	s_delay_alu instid0(VALU_DEP_1) | instskip(NEXT) | instid1(VALU_DEP_1)
	v_lshrrev_b32_e32 v1, 16, v1
	v_mul_lo_u16 v7, v1, 43
	s_delay_alu instid0(VALU_DEP_1) | instskip(NEXT) | instid1(VALU_DEP_1)
	v_lshrrev_b16 v7, 8, v7
	v_mul_lo_u16 v7, v7, 6
	s_delay_alu instid0(VALU_DEP_1) | instskip(NEXT) | instid1(VALU_DEP_1)
	v_sub_nc_u16 v1, v1, v7
	v_and_b32_e32 v1, 0xff, v1
.LBB83_3:
	s_bfe_u32 s4, ttmp6, 0x4000c
	s_and_b32 s5, ttmp6, 15
	s_add_co_i32 s4, s4, 1
	s_getreg_b32 s6, hwreg(HW_REG_IB_STS2, 6, 4)
	s_mul_i32 s4, ttmp9, s4
	s_delay_alu instid0(SALU_CYCLE_1) | instskip(SKIP_2) | instid1(SALU_CYCLE_1)
	s_add_co_i32 s5, s5, s4
	s_cmp_eq_u32 s6, 0
	s_cselect_b32 s8, ttmp9, s5
	s_ashr_i32 s9, s8, 31
	s_delay_alu instid0(SALU_CYCLE_1) | instskip(NEXT) | instid1(SALU_CYCLE_1)
	s_lshl_b64 s[4:5], s[8:9], 2
	s_add_nc_u64 s[4:5], s[2:3], s[4:5]
	s_load_b64 s[14:15], s[4:5], 0x0
	s_load_b64 s[2:3], s[0:1], 0x40
	s_wait_kmcnt 0x0
	s_cmp_ge_i32 s14, s15
	s_cbranch_scc1 .LBB83_8
; %bb.4:
	s_clause 0x1
	s_load_b128 s[4:7], s[0:1], 0x18
	s_load_b64 s[12:13], s[0:1], 0x30
	v_mad_u32 v10, 0x54, s14, v0
	v_mul_u32_u24_e32 v9, 0x30d, v6
	s_wait_xcnt 0x0
	s_mul_i32 s0, s10, 0x54
	v_mov_b64_e32 v[6:7], 0
	s_sub_co_i32 s1, s14, s10
	v_lshrrev_b32_e32 v9, 16, v9
	s_delay_alu instid0(VALU_DEP_4)
	v_subrev_nc_u32_e32 v10, s0, v10
	s_sub_co_i32 s0, s15, s10
	s_branch .LBB83_6
.LBB83_5:                               ;   in Loop: Header=BB83_6 Depth=1
	s_or_b32 exec_lo, exec_lo, s9
	v_add_nc_u32_e32 v10, 0x54, v10
	s_add_co_i32 s1, s1, 1
	s_delay_alu instid0(SALU_CYCLE_1)
	s_cmp_ge_i32 s1, s0
	s_cbranch_scc1 .LBB83_9
.LBB83_6:                               ; =>This Inner Loop Header: Depth=1
	s_delay_alu instid0(VALU_DEP_2) | instskip(SKIP_1) | instid1(VALU_DEP_1)
	v_add_nc_u32_e32 v11, s1, v9
	s_mov_b32 s9, exec_lo
	v_cmpx_gt_i32_e64 s0, v11
	s_cbranch_execz .LBB83_5
; %bb.7:                                ;   in Loop: Header=BB83_6 Depth=1
	s_wait_kmcnt 0x0
	global_load_b32 v11, v11, s[4:5] scale_offset
	s_wait_loadcnt 0x0
	v_subrev_nc_u32_e32 v11, s10, v11
	s_delay_alu instid0(VALU_DEP_1) | instskip(SKIP_4) | instid1(VALU_DEP_1)
	v_mad_u32 v11, v11, 6, v1
	global_load_b64 v[12:13], v11, s[12:13] scale_offset
	global_load_b64 v[14:15], v10, s[6:7] scale_offset
	s_wait_loadcnt 0x0
	v_pk_fma_f32 v[6:7], v[14:15], v[12:13], v[6:7] op_sel_hi:[1,0,1]
	v_pk_fma_f32 v[6:7], v[14:15], v[12:13], v[6:7] op_sel:[1,1,0] op_sel_hi:[0,1,1] neg_lo:[1,0,0]
	s_branch .LBB83_5
.LBB83_8:
	v_mov_b64_e32 v[6:7], 0
.LBB83_9:
	v_lshlrev_b32_e32 v1, 3, v0
	s_and_b32 vcc_lo, exec_lo, s11
	ds_store_b64 v1, v[6:7]
	s_wait_dscnt 0x0
	s_barrier_signal -1
	s_barrier_wait -1
	s_cbranch_vccz .LBB83_19
; %bb.10:
	v_cmp_gt_u16_e32 vcc_lo, 2, v8
	s_and_saveexec_b32 s0, vcc_lo
	s_cbranch_execz .LBB83_12
; %bb.11:
	ds_load_2addr_b64 v[10:13], v1 offset1:4
	s_wait_dscnt 0x0
	v_pk_add_f32 v[10:11], v[12:13], v[10:11]
	ds_store_b64 v1, v[10:11]
.LBB83_12:
	s_or_b32 exec_lo, exec_lo, s0
	s_wait_dscnt 0x0
	s_barrier_signal -1
	s_barrier_wait -1
	s_and_saveexec_b32 s0, vcc_lo
	s_cbranch_execz .LBB83_14
; %bb.13:
	ds_load_2addr_b64 v[10:13], v1 offset1:2
	s_wait_dscnt 0x0
	v_pk_add_f32 v[10:11], v[12:13], v[10:11]
	ds_store_b64 v1, v[10:11]
.LBB83_14:
	s_or_b32 exec_lo, exec_lo, s0
	s_delay_alu instid0(SALU_CYCLE_1)
	s_mov_b32 s0, exec_lo
	s_wait_dscnt 0x0
	s_barrier_signal -1
	s_barrier_wait -1
	v_cmpx_eq_u16_e32 0, v8
	s_cbranch_execz .LBB83_16
; %bb.15:
	ds_load_2addr_b64 v[8:11], v1 offset1:1
	s_wait_dscnt 0x0
	v_pk_add_f32 v[8:9], v[10:11], v[8:9]
	ds_store_b64 v1, v[8:9]
.LBB83_16:
	s_or_b32 exec_lo, exec_lo, s0
	v_mov_b64_e32 v[8:9], v[6:7]
	s_mov_b32 s0, exec_lo
	s_wait_dscnt 0x0
	s_barrier_signal -1
	s_barrier_wait -1
	v_cmpx_gt_u32_e32 14, v0
; %bb.17:
	v_mad_u32_u24 v8, v0, 40, v1
	ds_load_b64 v[8:9], v8
; %bb.18:
	s_or_b32 exec_lo, exec_lo, s0
	s_branch .LBB83_29
.LBB83_19:
                                        ; implicit-def: $vgpr8_vgpr9
	s_cbranch_execz .LBB83_29
; %bb.20:
	v_cmp_gt_u32_e32 vcc_lo, 28, v0
	s_and_saveexec_b32 s0, vcc_lo
	s_cbranch_execz .LBB83_22
; %bb.21:
	s_wait_dscnt 0x0
	ds_load_2addr_b64 v[8:11], v1 offset1:56
	s_wait_dscnt 0x0
	v_pk_add_f32 v[8:9], v[10:11], v[8:9]
	ds_store_b64 v1, v[8:9]
.LBB83_22:
	s_or_b32 exec_lo, exec_lo, s0
	s_wait_dscnt 0x0
	s_barrier_signal -1
	s_barrier_wait -1
	s_and_saveexec_b32 s0, vcc_lo
	s_cbranch_execz .LBB83_24
; %bb.23:
	ds_load_2addr_b64 v[8:11], v1 offset1:28
	s_wait_dscnt 0x0
	v_pk_add_f32 v[8:9], v[10:11], v[8:9]
	ds_store_b64 v1, v[8:9]
.LBB83_24:
	s_or_b32 exec_lo, exec_lo, s0
	s_delay_alu instid0(SALU_CYCLE_1)
	s_mov_b32 s0, exec_lo
	s_wait_dscnt 0x0
	v_cmpx_lt_u32_e32 13, v0
	s_xor_b32 s0, exec_lo, s0
; %bb.25:
                                        ; implicit-def: $vgpr1
; %bb.26:
	s_delay_alu instid0(SALU_CYCLE_1)
	s_and_not1_saveexec_b32 s0, s0
	s_cbranch_execz .LBB83_28
; %bb.27:
	ds_load_2addr_b64 v[6:9], v1 offset1:14
	s_wait_dscnt 0x0
	v_pk_add_f32 v[6:7], v[8:9], v[6:7]
	ds_store_b64 v1, v[6:7]
	s_wait_dscnt 0x0
	ds_load_b64 v[6:7], v1
.LBB83_28:
	s_or_b32 exec_lo, exec_lo, s0
	s_wait_dscnt 0x0
	v_mov_b64_e32 v[8:9], v[6:7]
.LBB83_29:
	v_cmp_gt_u32_e32 vcc_lo, 14, v0
	s_and_b32 exec_lo, exec_lo, vcc_lo
	s_cbranch_execz .LBB83_34
; %bb.30:
	v_mad_u32 v6, s8, 14, v0
	v_cmp_eq_f32_e32 vcc_lo, 0, v4
	v_cmp_eq_f32_e64 s0, 0, v5
	v_xor_b32_e32 v0, 0x80000000, v3
	s_and_b32 s0, vcc_lo, s0
	s_delay_alu instid0(SALU_CYCLE_1) | instskip(NEXT) | instid1(SALU_CYCLE_1)
	s_and_saveexec_b32 s1, s0
	s_xor_b32 s0, exec_lo, s1
	s_cbranch_execz .LBB83_32
; %bb.31:
	v_mov_b32_e32 v1, v2
                                        ; implicit-def: $vgpr4_vgpr5
	s_wait_dscnt 0x0
	s_delay_alu instid0(VALU_DEP_1) | instskip(NEXT) | instid1(VALU_DEP_1)
	v_pk_mul_f32 v[0:1], v[8:9], v[0:1] op_sel:[1,0]
	v_pk_fma_f32 v[0:1], v[2:3], v[8:9], v[0:1] op_sel_hi:[1,0,1]
                                        ; implicit-def: $vgpr2_vgpr3
                                        ; implicit-def: $vgpr8_vgpr9
	global_store_b64 v6, v[0:1], s[2:3] scale_offset
                                        ; implicit-def: $vgpr6
                                        ; implicit-def: $vgpr0
.LBB83_32:
	s_wait_xcnt 0x0
	s_and_not1_saveexec_b32 s0, s0
	s_cbranch_execz .LBB83_34
; %bb.33:
	global_load_b64 v[10:11], v6, s[2:3] scale_offset
	v_mov_b32_e32 v1, v2
	s_wait_dscnt 0x0
	s_delay_alu instid0(VALU_DEP_1) | instskip(NEXT) | instid1(VALU_DEP_1)
	v_pk_mul_f32 v[0:1], v[8:9], v[0:1] op_sel:[1,0]
	v_pk_fma_f32 v[0:1], v[2:3], v[8:9], v[0:1] op_sel_hi:[1,0,1]
	v_xor_b32_e32 v2, 0x80000000, v5
	v_mov_b32_e32 v3, v4
	s_wait_loadcnt 0x0
	s_delay_alu instid0(VALU_DEP_3) | instskip(NEXT) | instid1(VALU_DEP_1)
	v_pk_fma_f32 v[0:1], v[4:5], v[10:11], v[0:1] op_sel_hi:[1,0,1]
	v_pk_fma_f32 v[0:1], v[2:3], v[10:11], v[0:1] op_sel:[0,1,0]
	global_store_b64 v6, v[0:1], s[2:3] scale_offset
.LBB83_34:
	s_endpgm
	.section	.rodata,"a",@progbits
	.p2align	6, 0x0
	.amdhsa_kernel _ZN9rocsparseL22gebsrmvn_mxn_16_kernelILj84ELj14ELj6E21rocsparse_complex_numIfEEEvi20rocsparse_direction_NS_24const_host_device_scalarIT2_EEPKiS8_PKS5_iiSA_S6_PS5_21rocsparse_index_base_b
		.amdhsa_group_segment_fixed_size 672
		.amdhsa_private_segment_fixed_size 0
		.amdhsa_kernarg_size 80
		.amdhsa_user_sgpr_count 2
		.amdhsa_user_sgpr_dispatch_ptr 0
		.amdhsa_user_sgpr_queue_ptr 0
		.amdhsa_user_sgpr_kernarg_segment_ptr 1
		.amdhsa_user_sgpr_dispatch_id 0
		.amdhsa_user_sgpr_kernarg_preload_length 0
		.amdhsa_user_sgpr_kernarg_preload_offset 0
		.amdhsa_user_sgpr_private_segment_size 0
		.amdhsa_wavefront_size32 1
		.amdhsa_uses_dynamic_stack 0
		.amdhsa_enable_private_segment 0
		.amdhsa_system_sgpr_workgroup_id_x 1
		.amdhsa_system_sgpr_workgroup_id_y 0
		.amdhsa_system_sgpr_workgroup_id_z 0
		.amdhsa_system_sgpr_workgroup_info 0
		.amdhsa_system_vgpr_workitem_id 0
		.amdhsa_next_free_vgpr 16
		.amdhsa_next_free_sgpr 16
		.amdhsa_named_barrier_count 0
		.amdhsa_reserve_vcc 1
		.amdhsa_float_round_mode_32 0
		.amdhsa_float_round_mode_16_64 0
		.amdhsa_float_denorm_mode_32 3
		.amdhsa_float_denorm_mode_16_64 3
		.amdhsa_fp16_overflow 0
		.amdhsa_memory_ordered 1
		.amdhsa_forward_progress 1
		.amdhsa_inst_pref_size 10
		.amdhsa_round_robin_scheduling 0
		.amdhsa_exception_fp_ieee_invalid_op 0
		.amdhsa_exception_fp_denorm_src 0
		.amdhsa_exception_fp_ieee_div_zero 0
		.amdhsa_exception_fp_ieee_overflow 0
		.amdhsa_exception_fp_ieee_underflow 0
		.amdhsa_exception_fp_ieee_inexact 0
		.amdhsa_exception_int_div_zero 0
	.end_amdhsa_kernel
	.section	.text._ZN9rocsparseL22gebsrmvn_mxn_16_kernelILj84ELj14ELj6E21rocsparse_complex_numIfEEEvi20rocsparse_direction_NS_24const_host_device_scalarIT2_EEPKiS8_PKS5_iiSA_S6_PS5_21rocsparse_index_base_b,"axG",@progbits,_ZN9rocsparseL22gebsrmvn_mxn_16_kernelILj84ELj14ELj6E21rocsparse_complex_numIfEEEvi20rocsparse_direction_NS_24const_host_device_scalarIT2_EEPKiS8_PKS5_iiSA_S6_PS5_21rocsparse_index_base_b,comdat
.Lfunc_end83:
	.size	_ZN9rocsparseL22gebsrmvn_mxn_16_kernelILj84ELj14ELj6E21rocsparse_complex_numIfEEEvi20rocsparse_direction_NS_24const_host_device_scalarIT2_EEPKiS8_PKS5_iiSA_S6_PS5_21rocsparse_index_base_b, .Lfunc_end83-_ZN9rocsparseL22gebsrmvn_mxn_16_kernelILj84ELj14ELj6E21rocsparse_complex_numIfEEEvi20rocsparse_direction_NS_24const_host_device_scalarIT2_EEPKiS8_PKS5_iiSA_S6_PS5_21rocsparse_index_base_b
                                        ; -- End function
	.set _ZN9rocsparseL22gebsrmvn_mxn_16_kernelILj84ELj14ELj6E21rocsparse_complex_numIfEEEvi20rocsparse_direction_NS_24const_host_device_scalarIT2_EEPKiS8_PKS5_iiSA_S6_PS5_21rocsparse_index_base_b.num_vgpr, 16
	.set _ZN9rocsparseL22gebsrmvn_mxn_16_kernelILj84ELj14ELj6E21rocsparse_complex_numIfEEEvi20rocsparse_direction_NS_24const_host_device_scalarIT2_EEPKiS8_PKS5_iiSA_S6_PS5_21rocsparse_index_base_b.num_agpr, 0
	.set _ZN9rocsparseL22gebsrmvn_mxn_16_kernelILj84ELj14ELj6E21rocsparse_complex_numIfEEEvi20rocsparse_direction_NS_24const_host_device_scalarIT2_EEPKiS8_PKS5_iiSA_S6_PS5_21rocsparse_index_base_b.numbered_sgpr, 16
	.set _ZN9rocsparseL22gebsrmvn_mxn_16_kernelILj84ELj14ELj6E21rocsparse_complex_numIfEEEvi20rocsparse_direction_NS_24const_host_device_scalarIT2_EEPKiS8_PKS5_iiSA_S6_PS5_21rocsparse_index_base_b.num_named_barrier, 0
	.set _ZN9rocsparseL22gebsrmvn_mxn_16_kernelILj84ELj14ELj6E21rocsparse_complex_numIfEEEvi20rocsparse_direction_NS_24const_host_device_scalarIT2_EEPKiS8_PKS5_iiSA_S6_PS5_21rocsparse_index_base_b.private_seg_size, 0
	.set _ZN9rocsparseL22gebsrmvn_mxn_16_kernelILj84ELj14ELj6E21rocsparse_complex_numIfEEEvi20rocsparse_direction_NS_24const_host_device_scalarIT2_EEPKiS8_PKS5_iiSA_S6_PS5_21rocsparse_index_base_b.uses_vcc, 1
	.set _ZN9rocsparseL22gebsrmvn_mxn_16_kernelILj84ELj14ELj6E21rocsparse_complex_numIfEEEvi20rocsparse_direction_NS_24const_host_device_scalarIT2_EEPKiS8_PKS5_iiSA_S6_PS5_21rocsparse_index_base_b.uses_flat_scratch, 1
	.set _ZN9rocsparseL22gebsrmvn_mxn_16_kernelILj84ELj14ELj6E21rocsparse_complex_numIfEEEvi20rocsparse_direction_NS_24const_host_device_scalarIT2_EEPKiS8_PKS5_iiSA_S6_PS5_21rocsparse_index_base_b.has_dyn_sized_stack, 0
	.set _ZN9rocsparseL22gebsrmvn_mxn_16_kernelILj84ELj14ELj6E21rocsparse_complex_numIfEEEvi20rocsparse_direction_NS_24const_host_device_scalarIT2_EEPKiS8_PKS5_iiSA_S6_PS5_21rocsparse_index_base_b.has_recursion, 0
	.set _ZN9rocsparseL22gebsrmvn_mxn_16_kernelILj84ELj14ELj6E21rocsparse_complex_numIfEEEvi20rocsparse_direction_NS_24const_host_device_scalarIT2_EEPKiS8_PKS5_iiSA_S6_PS5_21rocsparse_index_base_b.has_indirect_call, 0
	.section	.AMDGPU.csdata,"",@progbits
; Kernel info:
; codeLenInByte = 1252
; TotalNumSgprs: 18
; NumVgprs: 16
; ScratchSize: 0
; MemoryBound: 0
; FloatMode: 240
; IeeeMode: 1
; LDSByteSize: 672 bytes/workgroup (compile time only)
; SGPRBlocks: 0
; VGPRBlocks: 0
; NumSGPRsForWavesPerEU: 18
; NumVGPRsForWavesPerEU: 16
; NamedBarCnt: 0
; Occupancy: 16
; WaveLimiterHint : 1
; COMPUTE_PGM_RSRC2:SCRATCH_EN: 0
; COMPUTE_PGM_RSRC2:USER_SGPR: 2
; COMPUTE_PGM_RSRC2:TRAP_HANDLER: 0
; COMPUTE_PGM_RSRC2:TGID_X_EN: 1
; COMPUTE_PGM_RSRC2:TGID_Y_EN: 0
; COMPUTE_PGM_RSRC2:TGID_Z_EN: 0
; COMPUTE_PGM_RSRC2:TIDIG_COMP_CNT: 0
	.section	.text._ZN9rocsparseL22gebsrmvn_mxn_16_kernelILj98ELj14ELj7E21rocsparse_complex_numIfEEEvi20rocsparse_direction_NS_24const_host_device_scalarIT2_EEPKiS8_PKS5_iiSA_S6_PS5_21rocsparse_index_base_b,"axG",@progbits,_ZN9rocsparseL22gebsrmvn_mxn_16_kernelILj98ELj14ELj7E21rocsparse_complex_numIfEEEvi20rocsparse_direction_NS_24const_host_device_scalarIT2_EEPKiS8_PKS5_iiSA_S6_PS5_21rocsparse_index_base_b,comdat
	.globl	_ZN9rocsparseL22gebsrmvn_mxn_16_kernelILj98ELj14ELj7E21rocsparse_complex_numIfEEEvi20rocsparse_direction_NS_24const_host_device_scalarIT2_EEPKiS8_PKS5_iiSA_S6_PS5_21rocsparse_index_base_b ; -- Begin function _ZN9rocsparseL22gebsrmvn_mxn_16_kernelILj98ELj14ELj7E21rocsparse_complex_numIfEEEvi20rocsparse_direction_NS_24const_host_device_scalarIT2_EEPKiS8_PKS5_iiSA_S6_PS5_21rocsparse_index_base_b
	.p2align	8
	.type	_ZN9rocsparseL22gebsrmvn_mxn_16_kernelILj98ELj14ELj7E21rocsparse_complex_numIfEEEvi20rocsparse_direction_NS_24const_host_device_scalarIT2_EEPKiS8_PKS5_iiSA_S6_PS5_21rocsparse_index_base_b,@function
_ZN9rocsparseL22gebsrmvn_mxn_16_kernelILj98ELj14ELj7E21rocsparse_complex_numIfEEEvi20rocsparse_direction_NS_24const_host_device_scalarIT2_EEPKiS8_PKS5_iiSA_S6_PS5_21rocsparse_index_base_b: ; @_ZN9rocsparseL22gebsrmvn_mxn_16_kernelILj98ELj14ELj7E21rocsparse_complex_numIfEEEvi20rocsparse_direction_NS_24const_host_device_scalarIT2_EEPKiS8_PKS5_iiSA_S6_PS5_21rocsparse_index_base_b
; %bb.0:
	s_clause 0x2
	s_load_b64 s[10:11], s[0:1], 0x48
	s_load_b64 s[2:3], s[0:1], 0x8
	;; [unrolled: 1-line block ×3, first 2 shown]
	v_mov_b32_e32 v1, 0
	s_add_nc_u64 s[6:7], s[0:1], 8
	s_add_nc_u64 s[8:9], s[0:1], 56
	s_wait_kmcnt 0x0
	s_bitcmp1_b32 s11, 0
	s_cselect_b32 s3, s7, s3
	s_cselect_b32 s2, s6, s2
	;; [unrolled: 1-line block ×4, first 2 shown]
	s_clause 0x1
	flat_load_b64 v[2:3], v1, s[2:3]
	flat_load_b64 v[4:5], v1, s[4:5]
	s_wait_loadcnt_dscnt 0x101
	v_cmp_eq_f32_e32 vcc_lo, 0, v2
	v_cmp_eq_f32_e64 s2, 0, v3
	s_wait_loadcnt_dscnt 0x0
	v_cmp_eq_f32_e64 s3, 1.0, v4
	v_cmp_eq_f32_e64 s4, 0, v5
	s_and_b32 s2, vcc_lo, s2
	s_and_b32 s3, s3, s4
	s_delay_alu instid0(SALU_CYCLE_1) | instskip(NEXT) | instid1(SALU_CYCLE_1)
	s_and_b32 s2, s2, s3
	s_xor_b32 s2, s2, -1
	s_delay_alu instid0(SALU_CYCLE_1)
	s_and_saveexec_b32 s3, s2
	s_cbranch_execz .LBB84_34
; %bb.1:
	v_mul_u32_u24_e32 v1, 0x2493, v0
	s_clause 0x1
	s_load_b32 s4, s[0:1], 0x4
	s_load_b64 s[2:3], s[0:1], 0x10
	v_and_b32_e32 v6, 0xffff, v0
	v_lshrrev_b32_e32 v1, 16, v1
	s_delay_alu instid0(VALU_DEP_1) | instskip(NEXT) | instid1(VALU_DEP_1)
	v_mul_lo_u16 v1, v1, 7
	v_sub_nc_u16 v1, v0, v1
	s_delay_alu instid0(VALU_DEP_1) | instskip(SKIP_3) | instid1(SALU_CYCLE_1)
	v_and_b32_e32 v8, 0xffff, v1
	s_wait_kmcnt 0x0
	s_cmp_lg_u32 s4, 1
	s_cselect_b32 s11, -1, 0
	s_and_b32 vcc_lo, exec_lo, s11
	v_mov_b32_e32 v1, v8
	s_cbranch_vccnz .LBB84_3
; %bb.2:
	v_mul_u32_u24_e32 v1, 0x124a, v6
	s_delay_alu instid0(VALU_DEP_1) | instskip(NEXT) | instid1(VALU_DEP_1)
	v_lshrrev_b32_e32 v1, 16, v1
	v_mul_lo_u16 v7, v1, 37
	s_delay_alu instid0(VALU_DEP_1) | instskip(NEXT) | instid1(VALU_DEP_1)
	v_lshrrev_b16 v7, 8, v7
	v_mul_lo_u16 v7, v7, 7
	s_delay_alu instid0(VALU_DEP_1) | instskip(NEXT) | instid1(VALU_DEP_1)
	v_sub_nc_u16 v1, v1, v7
	v_and_b32_e32 v1, 0xff, v1
.LBB84_3:
	s_bfe_u32 s4, ttmp6, 0x4000c
	s_and_b32 s5, ttmp6, 15
	s_add_co_i32 s4, s4, 1
	s_getreg_b32 s6, hwreg(HW_REG_IB_STS2, 6, 4)
	s_mul_i32 s4, ttmp9, s4
	s_delay_alu instid0(SALU_CYCLE_1) | instskip(SKIP_2) | instid1(SALU_CYCLE_1)
	s_add_co_i32 s5, s5, s4
	s_cmp_eq_u32 s6, 0
	s_cselect_b32 s8, ttmp9, s5
	s_ashr_i32 s9, s8, 31
	s_delay_alu instid0(SALU_CYCLE_1) | instskip(NEXT) | instid1(SALU_CYCLE_1)
	s_lshl_b64 s[4:5], s[8:9], 2
	s_add_nc_u64 s[4:5], s[2:3], s[4:5]
	s_load_b64 s[14:15], s[4:5], 0x0
	s_load_b64 s[2:3], s[0:1], 0x40
	s_wait_kmcnt 0x0
	s_cmp_ge_i32 s14, s15
	s_cbranch_scc1 .LBB84_8
; %bb.4:
	s_clause 0x1
	s_load_b128 s[4:7], s[0:1], 0x18
	s_load_b64 s[12:13], s[0:1], 0x30
	v_mad_u32 v10, 0x62, s14, v0
	v_mul_u32_u24_e32 v9, 0x29d, v6
	s_wait_xcnt 0x0
	s_mul_i32 s0, s10, 0x62
	v_mov_b64_e32 v[6:7], 0
	s_sub_co_i32 s1, s14, s10
	v_lshrrev_b32_e32 v9, 16, v9
	s_delay_alu instid0(VALU_DEP_4)
	v_subrev_nc_u32_e32 v10, s0, v10
	s_sub_co_i32 s0, s15, s10
	s_branch .LBB84_6
.LBB84_5:                               ;   in Loop: Header=BB84_6 Depth=1
	s_or_b32 exec_lo, exec_lo, s9
	v_add_nc_u32_e32 v10, 0x62, v10
	s_add_co_i32 s1, s1, 1
	s_delay_alu instid0(SALU_CYCLE_1)
	s_cmp_ge_i32 s1, s0
	s_cbranch_scc1 .LBB84_9
.LBB84_6:                               ; =>This Inner Loop Header: Depth=1
	s_delay_alu instid0(VALU_DEP_2) | instskip(SKIP_1) | instid1(VALU_DEP_1)
	v_add_nc_u32_e32 v11, s1, v9
	s_mov_b32 s9, exec_lo
	v_cmpx_gt_i32_e64 s0, v11
	s_cbranch_execz .LBB84_5
; %bb.7:                                ;   in Loop: Header=BB84_6 Depth=1
	s_wait_kmcnt 0x0
	global_load_b32 v11, v11, s[4:5] scale_offset
	s_wait_loadcnt 0x0
	v_subrev_nc_u32_e32 v11, s10, v11
	s_delay_alu instid0(VALU_DEP_1) | instskip(SKIP_4) | instid1(VALU_DEP_1)
	v_mad_u32 v11, v11, 7, v1
	global_load_b64 v[12:13], v11, s[12:13] scale_offset
	global_load_b64 v[14:15], v10, s[6:7] scale_offset
	s_wait_loadcnt 0x0
	v_pk_fma_f32 v[6:7], v[14:15], v[12:13], v[6:7] op_sel_hi:[1,0,1]
	v_pk_fma_f32 v[6:7], v[14:15], v[12:13], v[6:7] op_sel:[1,1,0] op_sel_hi:[0,1,1] neg_lo:[1,0,0]
	s_branch .LBB84_5
.LBB84_8:
	v_mov_b64_e32 v[6:7], 0
.LBB84_9:
	v_lshlrev_b32_e32 v1, 3, v0
	s_and_b32 vcc_lo, exec_lo, s11
	ds_store_b64 v1, v[6:7]
	s_wait_dscnt 0x0
	s_barrier_signal -1
	s_barrier_wait -1
	s_cbranch_vccz .LBB84_19
; %bb.10:
	s_mov_b32 s0, exec_lo
	v_cmpx_gt_u16_e32 3, v8
	s_cbranch_execz .LBB84_12
; %bb.11:
	ds_load_2addr_b64 v[10:13], v1 offset1:4
	s_wait_dscnt 0x0
	v_pk_add_f32 v[10:11], v[12:13], v[10:11]
	ds_store_b64 v1, v[10:11]
.LBB84_12:
	s_or_b32 exec_lo, exec_lo, s0
	s_delay_alu instid0(SALU_CYCLE_1)
	s_mov_b32 s0, exec_lo
	s_wait_dscnt 0x0
	s_barrier_signal -1
	s_barrier_wait -1
	v_cmpx_gt_u16_e32 2, v8
	s_cbranch_execz .LBB84_14
; %bb.13:
	ds_load_2addr_b64 v[10:13], v1 offset1:2
	s_wait_dscnt 0x0
	v_pk_add_f32 v[10:11], v[12:13], v[10:11]
	ds_store_b64 v1, v[10:11]
.LBB84_14:
	s_or_b32 exec_lo, exec_lo, s0
	s_delay_alu instid0(SALU_CYCLE_1)
	s_mov_b32 s0, exec_lo
	s_wait_dscnt 0x0
	s_barrier_signal -1
	s_barrier_wait -1
	v_cmpx_eq_u16_e32 0, v8
	s_cbranch_execz .LBB84_16
; %bb.15:
	ds_load_2addr_b64 v[8:11], v1 offset1:1
	s_wait_dscnt 0x0
	v_pk_add_f32 v[8:9], v[10:11], v[8:9]
	ds_store_b64 v1, v[8:9]
.LBB84_16:
	s_or_b32 exec_lo, exec_lo, s0
	v_mov_b64_e32 v[8:9], v[6:7]
	s_mov_b32 s0, exec_lo
	s_wait_dscnt 0x0
	s_barrier_signal -1
	s_barrier_wait -1
	v_cmpx_gt_u32_e32 14, v0
; %bb.17:
	v_mad_u32_u24 v8, v0, 48, v1
	ds_load_b64 v[8:9], v8
; %bb.18:
	s_or_b32 exec_lo, exec_lo, s0
	s_branch .LBB84_29
.LBB84_19:
                                        ; implicit-def: $vgpr8_vgpr9
	s_cbranch_execz .LBB84_29
; %bb.20:
	s_mov_b32 s0, exec_lo
	v_cmpx_gt_u32_e32 42, v0
	s_cbranch_execz .LBB84_22
; %bb.21:
	s_wait_dscnt 0x0
	ds_load_2addr_b64 v[8:11], v1 offset1:56
	s_wait_dscnt 0x0
	v_pk_add_f32 v[8:9], v[10:11], v[8:9]
	ds_store_b64 v1, v[8:9]
.LBB84_22:
	s_or_b32 exec_lo, exec_lo, s0
	s_delay_alu instid0(SALU_CYCLE_1)
	s_mov_b32 s0, exec_lo
	s_wait_dscnt 0x0
	s_barrier_signal -1
	s_barrier_wait -1
	v_cmpx_gt_u32_e32 28, v0
	s_cbranch_execz .LBB84_24
; %bb.23:
	ds_load_2addr_b64 v[8:11], v1 offset1:28
	s_wait_dscnt 0x0
	v_pk_add_f32 v[8:9], v[10:11], v[8:9]
	ds_store_b64 v1, v[8:9]
.LBB84_24:
	s_or_b32 exec_lo, exec_lo, s0
	s_delay_alu instid0(SALU_CYCLE_1)
	s_mov_b32 s0, exec_lo
	s_wait_dscnt 0x0
	v_cmpx_lt_u32_e32 13, v0
	s_xor_b32 s0, exec_lo, s0
; %bb.25:
                                        ; implicit-def: $vgpr1
; %bb.26:
	s_delay_alu instid0(SALU_CYCLE_1)
	s_and_not1_saveexec_b32 s0, s0
	s_cbranch_execz .LBB84_28
; %bb.27:
	ds_load_2addr_b64 v[6:9], v1 offset1:14
	s_wait_dscnt 0x0
	v_pk_add_f32 v[6:7], v[8:9], v[6:7]
	ds_store_b64 v1, v[6:7]
	s_wait_dscnt 0x0
	ds_load_b64 v[6:7], v1
.LBB84_28:
	s_or_b32 exec_lo, exec_lo, s0
	s_wait_dscnt 0x0
	v_mov_b64_e32 v[8:9], v[6:7]
.LBB84_29:
	v_cmp_gt_u32_e32 vcc_lo, 14, v0
	s_and_b32 exec_lo, exec_lo, vcc_lo
	s_cbranch_execz .LBB84_34
; %bb.30:
	v_mad_u32 v6, s8, 14, v0
	v_cmp_eq_f32_e32 vcc_lo, 0, v4
	v_cmp_eq_f32_e64 s0, 0, v5
	v_xor_b32_e32 v0, 0x80000000, v3
	s_and_b32 s0, vcc_lo, s0
	s_delay_alu instid0(SALU_CYCLE_1) | instskip(NEXT) | instid1(SALU_CYCLE_1)
	s_and_saveexec_b32 s1, s0
	s_xor_b32 s0, exec_lo, s1
	s_cbranch_execz .LBB84_32
; %bb.31:
	v_mov_b32_e32 v1, v2
                                        ; implicit-def: $vgpr4_vgpr5
	s_wait_dscnt 0x0
	s_delay_alu instid0(VALU_DEP_1) | instskip(NEXT) | instid1(VALU_DEP_1)
	v_pk_mul_f32 v[0:1], v[8:9], v[0:1] op_sel:[1,0]
	v_pk_fma_f32 v[0:1], v[2:3], v[8:9], v[0:1] op_sel_hi:[1,0,1]
                                        ; implicit-def: $vgpr2_vgpr3
                                        ; implicit-def: $vgpr8_vgpr9
	global_store_b64 v6, v[0:1], s[2:3] scale_offset
                                        ; implicit-def: $vgpr6
                                        ; implicit-def: $vgpr0
.LBB84_32:
	s_wait_xcnt 0x0
	s_and_not1_saveexec_b32 s0, s0
	s_cbranch_execz .LBB84_34
; %bb.33:
	global_load_b64 v[10:11], v6, s[2:3] scale_offset
	v_mov_b32_e32 v1, v2
	s_wait_dscnt 0x0
	s_delay_alu instid0(VALU_DEP_1) | instskip(NEXT) | instid1(VALU_DEP_1)
	v_pk_mul_f32 v[0:1], v[8:9], v[0:1] op_sel:[1,0]
	v_pk_fma_f32 v[0:1], v[2:3], v[8:9], v[0:1] op_sel_hi:[1,0,1]
	v_xor_b32_e32 v2, 0x80000000, v5
	v_mov_b32_e32 v3, v4
	s_wait_loadcnt 0x0
	s_delay_alu instid0(VALU_DEP_3) | instskip(NEXT) | instid1(VALU_DEP_1)
	v_pk_fma_f32 v[0:1], v[4:5], v[10:11], v[0:1] op_sel_hi:[1,0,1]
	v_pk_fma_f32 v[0:1], v[2:3], v[10:11], v[0:1] op_sel:[0,1,0]
	global_store_b64 v6, v[0:1], s[2:3] scale_offset
.LBB84_34:
	s_endpgm
	.section	.rodata,"a",@progbits
	.p2align	6, 0x0
	.amdhsa_kernel _ZN9rocsparseL22gebsrmvn_mxn_16_kernelILj98ELj14ELj7E21rocsparse_complex_numIfEEEvi20rocsparse_direction_NS_24const_host_device_scalarIT2_EEPKiS8_PKS5_iiSA_S6_PS5_21rocsparse_index_base_b
		.amdhsa_group_segment_fixed_size 784
		.amdhsa_private_segment_fixed_size 0
		.amdhsa_kernarg_size 80
		.amdhsa_user_sgpr_count 2
		.amdhsa_user_sgpr_dispatch_ptr 0
		.amdhsa_user_sgpr_queue_ptr 0
		.amdhsa_user_sgpr_kernarg_segment_ptr 1
		.amdhsa_user_sgpr_dispatch_id 0
		.amdhsa_user_sgpr_kernarg_preload_length 0
		.amdhsa_user_sgpr_kernarg_preload_offset 0
		.amdhsa_user_sgpr_private_segment_size 0
		.amdhsa_wavefront_size32 1
		.amdhsa_uses_dynamic_stack 0
		.amdhsa_enable_private_segment 0
		.amdhsa_system_sgpr_workgroup_id_x 1
		.amdhsa_system_sgpr_workgroup_id_y 0
		.amdhsa_system_sgpr_workgroup_id_z 0
		.amdhsa_system_sgpr_workgroup_info 0
		.amdhsa_system_vgpr_workitem_id 0
		.amdhsa_next_free_vgpr 16
		.amdhsa_next_free_sgpr 16
		.amdhsa_named_barrier_count 0
		.amdhsa_reserve_vcc 1
		.amdhsa_float_round_mode_32 0
		.amdhsa_float_round_mode_16_64 0
		.amdhsa_float_denorm_mode_32 3
		.amdhsa_float_denorm_mode_16_64 3
		.amdhsa_fp16_overflow 0
		.amdhsa_memory_ordered 1
		.amdhsa_forward_progress 1
		.amdhsa_inst_pref_size 10
		.amdhsa_round_robin_scheduling 0
		.amdhsa_exception_fp_ieee_invalid_op 0
		.amdhsa_exception_fp_denorm_src 0
		.amdhsa_exception_fp_ieee_div_zero 0
		.amdhsa_exception_fp_ieee_overflow 0
		.amdhsa_exception_fp_ieee_underflow 0
		.amdhsa_exception_fp_ieee_inexact 0
		.amdhsa_exception_int_div_zero 0
	.end_amdhsa_kernel
	.section	.text._ZN9rocsparseL22gebsrmvn_mxn_16_kernelILj98ELj14ELj7E21rocsparse_complex_numIfEEEvi20rocsparse_direction_NS_24const_host_device_scalarIT2_EEPKiS8_PKS5_iiSA_S6_PS5_21rocsparse_index_base_b,"axG",@progbits,_ZN9rocsparseL22gebsrmvn_mxn_16_kernelILj98ELj14ELj7E21rocsparse_complex_numIfEEEvi20rocsparse_direction_NS_24const_host_device_scalarIT2_EEPKiS8_PKS5_iiSA_S6_PS5_21rocsparse_index_base_b,comdat
.Lfunc_end84:
	.size	_ZN9rocsparseL22gebsrmvn_mxn_16_kernelILj98ELj14ELj7E21rocsparse_complex_numIfEEEvi20rocsparse_direction_NS_24const_host_device_scalarIT2_EEPKiS8_PKS5_iiSA_S6_PS5_21rocsparse_index_base_b, .Lfunc_end84-_ZN9rocsparseL22gebsrmvn_mxn_16_kernelILj98ELj14ELj7E21rocsparse_complex_numIfEEEvi20rocsparse_direction_NS_24const_host_device_scalarIT2_EEPKiS8_PKS5_iiSA_S6_PS5_21rocsparse_index_base_b
                                        ; -- End function
	.set _ZN9rocsparseL22gebsrmvn_mxn_16_kernelILj98ELj14ELj7E21rocsparse_complex_numIfEEEvi20rocsparse_direction_NS_24const_host_device_scalarIT2_EEPKiS8_PKS5_iiSA_S6_PS5_21rocsparse_index_base_b.num_vgpr, 16
	.set _ZN9rocsparseL22gebsrmvn_mxn_16_kernelILj98ELj14ELj7E21rocsparse_complex_numIfEEEvi20rocsparse_direction_NS_24const_host_device_scalarIT2_EEPKiS8_PKS5_iiSA_S6_PS5_21rocsparse_index_base_b.num_agpr, 0
	.set _ZN9rocsparseL22gebsrmvn_mxn_16_kernelILj98ELj14ELj7E21rocsparse_complex_numIfEEEvi20rocsparse_direction_NS_24const_host_device_scalarIT2_EEPKiS8_PKS5_iiSA_S6_PS5_21rocsparse_index_base_b.numbered_sgpr, 16
	.set _ZN9rocsparseL22gebsrmvn_mxn_16_kernelILj98ELj14ELj7E21rocsparse_complex_numIfEEEvi20rocsparse_direction_NS_24const_host_device_scalarIT2_EEPKiS8_PKS5_iiSA_S6_PS5_21rocsparse_index_base_b.num_named_barrier, 0
	.set _ZN9rocsparseL22gebsrmvn_mxn_16_kernelILj98ELj14ELj7E21rocsparse_complex_numIfEEEvi20rocsparse_direction_NS_24const_host_device_scalarIT2_EEPKiS8_PKS5_iiSA_S6_PS5_21rocsparse_index_base_b.private_seg_size, 0
	.set _ZN9rocsparseL22gebsrmvn_mxn_16_kernelILj98ELj14ELj7E21rocsparse_complex_numIfEEEvi20rocsparse_direction_NS_24const_host_device_scalarIT2_EEPKiS8_PKS5_iiSA_S6_PS5_21rocsparse_index_base_b.uses_vcc, 1
	.set _ZN9rocsparseL22gebsrmvn_mxn_16_kernelILj98ELj14ELj7E21rocsparse_complex_numIfEEEvi20rocsparse_direction_NS_24const_host_device_scalarIT2_EEPKiS8_PKS5_iiSA_S6_PS5_21rocsparse_index_base_b.uses_flat_scratch, 1
	.set _ZN9rocsparseL22gebsrmvn_mxn_16_kernelILj98ELj14ELj7E21rocsparse_complex_numIfEEEvi20rocsparse_direction_NS_24const_host_device_scalarIT2_EEPKiS8_PKS5_iiSA_S6_PS5_21rocsparse_index_base_b.has_dyn_sized_stack, 0
	.set _ZN9rocsparseL22gebsrmvn_mxn_16_kernelILj98ELj14ELj7E21rocsparse_complex_numIfEEEvi20rocsparse_direction_NS_24const_host_device_scalarIT2_EEPKiS8_PKS5_iiSA_S6_PS5_21rocsparse_index_base_b.has_recursion, 0
	.set _ZN9rocsparseL22gebsrmvn_mxn_16_kernelILj98ELj14ELj7E21rocsparse_complex_numIfEEEvi20rocsparse_direction_NS_24const_host_device_scalarIT2_EEPKiS8_PKS5_iiSA_S6_PS5_21rocsparse_index_base_b.has_indirect_call, 0
	.section	.AMDGPU.csdata,"",@progbits
; Kernel info:
; codeLenInByte = 1268
; TotalNumSgprs: 18
; NumVgprs: 16
; ScratchSize: 0
; MemoryBound: 0
; FloatMode: 240
; IeeeMode: 1
; LDSByteSize: 784 bytes/workgroup (compile time only)
; SGPRBlocks: 0
; VGPRBlocks: 0
; NumSGPRsForWavesPerEU: 18
; NumVGPRsForWavesPerEU: 16
; NamedBarCnt: 0
; Occupancy: 16
; WaveLimiterHint : 1
; COMPUTE_PGM_RSRC2:SCRATCH_EN: 0
; COMPUTE_PGM_RSRC2:USER_SGPR: 2
; COMPUTE_PGM_RSRC2:TRAP_HANDLER: 0
; COMPUTE_PGM_RSRC2:TGID_X_EN: 1
; COMPUTE_PGM_RSRC2:TGID_Y_EN: 0
; COMPUTE_PGM_RSRC2:TGID_Z_EN: 0
; COMPUTE_PGM_RSRC2:TIDIG_COMP_CNT: 0
	.section	.text._ZN9rocsparseL22gebsrmvn_mxn_16_kernelILj112ELj14ELj8E21rocsparse_complex_numIfEEEvi20rocsparse_direction_NS_24const_host_device_scalarIT2_EEPKiS8_PKS5_iiSA_S6_PS5_21rocsparse_index_base_b,"axG",@progbits,_ZN9rocsparseL22gebsrmvn_mxn_16_kernelILj112ELj14ELj8E21rocsparse_complex_numIfEEEvi20rocsparse_direction_NS_24const_host_device_scalarIT2_EEPKiS8_PKS5_iiSA_S6_PS5_21rocsparse_index_base_b,comdat
	.globl	_ZN9rocsparseL22gebsrmvn_mxn_16_kernelILj112ELj14ELj8E21rocsparse_complex_numIfEEEvi20rocsparse_direction_NS_24const_host_device_scalarIT2_EEPKiS8_PKS5_iiSA_S6_PS5_21rocsparse_index_base_b ; -- Begin function _ZN9rocsparseL22gebsrmvn_mxn_16_kernelILj112ELj14ELj8E21rocsparse_complex_numIfEEEvi20rocsparse_direction_NS_24const_host_device_scalarIT2_EEPKiS8_PKS5_iiSA_S6_PS5_21rocsparse_index_base_b
	.p2align	8
	.type	_ZN9rocsparseL22gebsrmvn_mxn_16_kernelILj112ELj14ELj8E21rocsparse_complex_numIfEEEvi20rocsparse_direction_NS_24const_host_device_scalarIT2_EEPKiS8_PKS5_iiSA_S6_PS5_21rocsparse_index_base_b,@function
_ZN9rocsparseL22gebsrmvn_mxn_16_kernelILj112ELj14ELj8E21rocsparse_complex_numIfEEEvi20rocsparse_direction_NS_24const_host_device_scalarIT2_EEPKiS8_PKS5_iiSA_S6_PS5_21rocsparse_index_base_b: ; @_ZN9rocsparseL22gebsrmvn_mxn_16_kernelILj112ELj14ELj8E21rocsparse_complex_numIfEEEvi20rocsparse_direction_NS_24const_host_device_scalarIT2_EEPKiS8_PKS5_iiSA_S6_PS5_21rocsparse_index_base_b
; %bb.0:
	s_clause 0x2
	s_load_b64 s[10:11], s[0:1], 0x48
	s_load_b64 s[2:3], s[0:1], 0x8
	;; [unrolled: 1-line block ×3, first 2 shown]
	v_mov_b32_e32 v1, 0
	s_add_nc_u64 s[6:7], s[0:1], 8
	s_add_nc_u64 s[8:9], s[0:1], 56
	s_wait_kmcnt 0x0
	s_bitcmp1_b32 s11, 0
	s_cselect_b32 s3, s7, s3
	s_cselect_b32 s2, s6, s2
	;; [unrolled: 1-line block ×4, first 2 shown]
	s_clause 0x1
	flat_load_b64 v[2:3], v1, s[2:3]
	flat_load_b64 v[4:5], v1, s[4:5]
	s_wait_loadcnt_dscnt 0x101
	v_cmp_eq_f32_e32 vcc_lo, 0, v2
	v_cmp_eq_f32_e64 s2, 0, v3
	s_wait_loadcnt_dscnt 0x0
	v_cmp_eq_f32_e64 s3, 1.0, v4
	v_cmp_eq_f32_e64 s4, 0, v5
	s_and_b32 s2, vcc_lo, s2
	s_and_b32 s3, s3, s4
	s_delay_alu instid0(SALU_CYCLE_1) | instskip(NEXT) | instid1(SALU_CYCLE_1)
	s_and_b32 s2, s2, s3
	s_xor_b32 s2, s2, -1
	s_delay_alu instid0(SALU_CYCLE_1)
	s_and_saveexec_b32 s3, s2
	s_cbranch_execz .LBB85_34
; %bb.1:
	s_clause 0x1
	s_load_b32 s4, s[0:1], 0x4
	s_load_b64 s[2:3], s[0:1], 0x10
	v_and_b32_e32 v8, 7, v0
	s_delay_alu instid0(VALU_DEP_1) | instskip(SKIP_3) | instid1(SALU_CYCLE_1)
	v_mov_b32_e32 v1, v8
	s_wait_kmcnt 0x0
	s_cmp_lg_u32 s4, 1
	s_cselect_b32 s11, -1, 0
	s_and_b32 vcc_lo, exec_lo, s11
	s_cbranch_vccnz .LBB85_3
; %bb.2:
	v_mul_u32_u24_e32 v1, 0x124a, v0
	s_delay_alu instid0(VALU_DEP_1)
	v_bfe_u32 v1, v1, 16, 3
.LBB85_3:
	s_bfe_u32 s4, ttmp6, 0x4000c
	s_and_b32 s5, ttmp6, 15
	s_add_co_i32 s4, s4, 1
	s_getreg_b32 s6, hwreg(HW_REG_IB_STS2, 6, 4)
	s_mul_i32 s4, ttmp9, s4
	s_delay_alu instid0(SALU_CYCLE_1) | instskip(SKIP_2) | instid1(SALU_CYCLE_1)
	s_add_co_i32 s5, s5, s4
	s_cmp_eq_u32 s6, 0
	s_cselect_b32 s8, ttmp9, s5
	s_ashr_i32 s9, s8, 31
	s_delay_alu instid0(SALU_CYCLE_1) | instskip(NEXT) | instid1(SALU_CYCLE_1)
	s_lshl_b64 s[4:5], s[8:9], 2
	s_add_nc_u64 s[4:5], s[2:3], s[4:5]
	s_load_b64 s[14:15], s[4:5], 0x0
	s_load_b64 s[2:3], s[0:1], 0x40
	s_wait_kmcnt 0x0
	s_cmp_ge_i32 s14, s15
	s_cbranch_scc1 .LBB85_8
; %bb.4:
	s_clause 0x1
	s_load_b128 s[4:7], s[0:1], 0x18
	s_load_b64 s[12:13], s[0:1], 0x30
	v_mad_u32 v10, 0x70, s14, v0
	v_mul_u32_u24_e32 v9, 0x24a, v0
	s_wait_xcnt 0x0
	s_mul_i32 s0, s10, 0x70
	v_mov_b64_e32 v[6:7], 0
	s_sub_co_i32 s1, s14, s10
	v_lshrrev_b32_e32 v9, 16, v9
	s_delay_alu instid0(VALU_DEP_4)
	v_subrev_nc_u32_e32 v10, s0, v10
	s_sub_co_i32 s0, s15, s10
	s_branch .LBB85_6
.LBB85_5:                               ;   in Loop: Header=BB85_6 Depth=1
	s_or_b32 exec_lo, exec_lo, s9
	v_add_nc_u32_e32 v10, 0x70, v10
	s_add_co_i32 s1, s1, 1
	s_delay_alu instid0(SALU_CYCLE_1)
	s_cmp_ge_i32 s1, s0
	s_cbranch_scc1 .LBB85_9
.LBB85_6:                               ; =>This Inner Loop Header: Depth=1
	s_delay_alu instid0(VALU_DEP_2) | instskip(SKIP_1) | instid1(VALU_DEP_1)
	v_add_nc_u32_e32 v11, s1, v9
	s_mov_b32 s9, exec_lo
	v_cmpx_gt_i32_e64 s0, v11
	s_cbranch_execz .LBB85_5
; %bb.7:                                ;   in Loop: Header=BB85_6 Depth=1
	s_wait_kmcnt 0x0
	global_load_b32 v11, v11, s[4:5] scale_offset
	s_wait_loadcnt 0x0
	v_subrev_nc_u32_e32 v11, s10, v11
	s_delay_alu instid0(VALU_DEP_1) | instskip(SKIP_4) | instid1(VALU_DEP_1)
	v_lshl_or_b32 v11, v11, 3, v1
	global_load_b64 v[12:13], v11, s[12:13] scale_offset
	global_load_b64 v[14:15], v10, s[6:7] scale_offset
	s_wait_loadcnt 0x0
	v_pk_fma_f32 v[6:7], v[14:15], v[12:13], v[6:7] op_sel_hi:[1,0,1]
	v_pk_fma_f32 v[6:7], v[14:15], v[12:13], v[6:7] op_sel:[1,1,0] op_sel_hi:[0,1,1] neg_lo:[1,0,0]
	s_branch .LBB85_5
.LBB85_8:
	v_mov_b64_e32 v[6:7], 0
.LBB85_9:
	v_lshlrev_b32_e32 v1, 3, v0
	s_and_b32 vcc_lo, exec_lo, s11
	ds_store_b64 v1, v[6:7]
	s_wait_dscnt 0x0
	s_barrier_signal -1
	s_barrier_wait -1
	s_cbranch_vccz .LBB85_19
; %bb.10:
	s_mov_b32 s0, exec_lo
	v_cmpx_gt_u32_e32 4, v8
	s_cbranch_execz .LBB85_12
; %bb.11:
	ds_load_2addr_b64 v[10:13], v1 offset1:4
	s_wait_dscnt 0x0
	v_pk_add_f32 v[10:11], v[12:13], v[10:11]
	ds_store_b64 v1, v[10:11]
.LBB85_12:
	s_or_b32 exec_lo, exec_lo, s0
	s_delay_alu instid0(SALU_CYCLE_1)
	s_mov_b32 s0, exec_lo
	s_wait_dscnt 0x0
	s_barrier_signal -1
	s_barrier_wait -1
	v_cmpx_gt_u32_e32 2, v8
	s_cbranch_execz .LBB85_14
; %bb.13:
	ds_load_2addr_b64 v[10:13], v1 offset1:2
	s_wait_dscnt 0x0
	v_pk_add_f32 v[10:11], v[12:13], v[10:11]
	ds_store_b64 v1, v[10:11]
.LBB85_14:
	s_or_b32 exec_lo, exec_lo, s0
	s_delay_alu instid0(SALU_CYCLE_1)
	s_mov_b32 s0, exec_lo
	s_wait_dscnt 0x0
	s_barrier_signal -1
	s_barrier_wait -1
	v_cmpx_eq_u32_e32 0, v8
	s_cbranch_execz .LBB85_16
; %bb.15:
	ds_load_2addr_b64 v[8:11], v1 offset1:1
	s_wait_dscnt 0x0
	v_pk_add_f32 v[8:9], v[10:11], v[8:9]
	ds_store_b64 v1, v[8:9]
.LBB85_16:
	s_or_b32 exec_lo, exec_lo, s0
	v_mov_b64_e32 v[8:9], v[6:7]
	s_mov_b32 s0, exec_lo
	s_wait_dscnt 0x0
	s_barrier_signal -1
	s_barrier_wait -1
	v_cmpx_gt_u32_e32 14, v0
; %bb.17:
	v_mad_u32_u24 v8, v0, 56, v1
	ds_load_b64 v[8:9], v8
; %bb.18:
	s_or_b32 exec_lo, exec_lo, s0
	s_branch .LBB85_29
.LBB85_19:
                                        ; implicit-def: $vgpr8_vgpr9
	s_cbranch_execz .LBB85_29
; %bb.20:
	s_mov_b32 s0, exec_lo
	v_cmpx_gt_u32_e32 56, v0
	s_cbranch_execz .LBB85_22
; %bb.21:
	s_wait_dscnt 0x0
	ds_load_2addr_b64 v[8:11], v1 offset1:56
	s_wait_dscnt 0x0
	v_pk_add_f32 v[8:9], v[10:11], v[8:9]
	ds_store_b64 v1, v[8:9]
.LBB85_22:
	s_or_b32 exec_lo, exec_lo, s0
	s_delay_alu instid0(SALU_CYCLE_1)
	s_mov_b32 s0, exec_lo
	s_wait_dscnt 0x0
	s_barrier_signal -1
	s_barrier_wait -1
	v_cmpx_gt_u32_e32 28, v0
	s_cbranch_execz .LBB85_24
; %bb.23:
	ds_load_2addr_b64 v[8:11], v1 offset1:28
	s_wait_dscnt 0x0
	v_pk_add_f32 v[8:9], v[10:11], v[8:9]
	ds_store_b64 v1, v[8:9]
.LBB85_24:
	s_or_b32 exec_lo, exec_lo, s0
	s_delay_alu instid0(SALU_CYCLE_1)
	s_mov_b32 s0, exec_lo
	s_wait_dscnt 0x0
	v_cmpx_lt_u32_e32 13, v0
	s_xor_b32 s0, exec_lo, s0
; %bb.25:
                                        ; implicit-def: $vgpr1
; %bb.26:
	s_delay_alu instid0(SALU_CYCLE_1)
	s_and_not1_saveexec_b32 s0, s0
	s_cbranch_execz .LBB85_28
; %bb.27:
	ds_load_2addr_b64 v[6:9], v1 offset1:14
	s_wait_dscnt 0x0
	v_pk_add_f32 v[6:7], v[8:9], v[6:7]
	ds_store_b64 v1, v[6:7]
	s_wait_dscnt 0x0
	ds_load_b64 v[6:7], v1
.LBB85_28:
	s_or_b32 exec_lo, exec_lo, s0
	s_wait_dscnt 0x0
	v_mov_b64_e32 v[8:9], v[6:7]
.LBB85_29:
	v_cmp_gt_u32_e32 vcc_lo, 14, v0
	s_and_b32 exec_lo, exec_lo, vcc_lo
	s_cbranch_execz .LBB85_34
; %bb.30:
	v_mad_u32 v6, s8, 14, v0
	v_cmp_eq_f32_e32 vcc_lo, 0, v4
	v_cmp_eq_f32_e64 s0, 0, v5
	v_xor_b32_e32 v0, 0x80000000, v3
	s_and_b32 s0, vcc_lo, s0
	s_delay_alu instid0(SALU_CYCLE_1) | instskip(NEXT) | instid1(SALU_CYCLE_1)
	s_and_saveexec_b32 s1, s0
	s_xor_b32 s0, exec_lo, s1
	s_cbranch_execz .LBB85_32
; %bb.31:
	v_mov_b32_e32 v1, v2
                                        ; implicit-def: $vgpr4_vgpr5
	s_wait_dscnt 0x0
	s_delay_alu instid0(VALU_DEP_1) | instskip(NEXT) | instid1(VALU_DEP_1)
	v_pk_mul_f32 v[0:1], v[8:9], v[0:1] op_sel:[1,0]
	v_pk_fma_f32 v[0:1], v[2:3], v[8:9], v[0:1] op_sel_hi:[1,0,1]
                                        ; implicit-def: $vgpr2_vgpr3
                                        ; implicit-def: $vgpr8_vgpr9
	global_store_b64 v6, v[0:1], s[2:3] scale_offset
                                        ; implicit-def: $vgpr6
                                        ; implicit-def: $vgpr0
.LBB85_32:
	s_wait_xcnt 0x0
	s_and_not1_saveexec_b32 s0, s0
	s_cbranch_execz .LBB85_34
; %bb.33:
	global_load_b64 v[10:11], v6, s[2:3] scale_offset
	v_mov_b32_e32 v1, v2
	s_wait_dscnt 0x0
	s_delay_alu instid0(VALU_DEP_1) | instskip(NEXT) | instid1(VALU_DEP_1)
	v_pk_mul_f32 v[0:1], v[8:9], v[0:1] op_sel:[1,0]
	v_pk_fma_f32 v[0:1], v[2:3], v[8:9], v[0:1] op_sel_hi:[1,0,1]
	v_xor_b32_e32 v2, 0x80000000, v5
	v_mov_b32_e32 v3, v4
	s_wait_loadcnt 0x0
	s_delay_alu instid0(VALU_DEP_3) | instskip(NEXT) | instid1(VALU_DEP_1)
	v_pk_fma_f32 v[0:1], v[4:5], v[10:11], v[0:1] op_sel_hi:[1,0,1]
	v_pk_fma_f32 v[0:1], v[2:3], v[10:11], v[0:1] op_sel:[0,1,0]
	global_store_b64 v6, v[0:1], s[2:3] scale_offset
.LBB85_34:
	s_endpgm
	.section	.rodata,"a",@progbits
	.p2align	6, 0x0
	.amdhsa_kernel _ZN9rocsparseL22gebsrmvn_mxn_16_kernelILj112ELj14ELj8E21rocsparse_complex_numIfEEEvi20rocsparse_direction_NS_24const_host_device_scalarIT2_EEPKiS8_PKS5_iiSA_S6_PS5_21rocsparse_index_base_b
		.amdhsa_group_segment_fixed_size 896
		.amdhsa_private_segment_fixed_size 0
		.amdhsa_kernarg_size 80
		.amdhsa_user_sgpr_count 2
		.amdhsa_user_sgpr_dispatch_ptr 0
		.amdhsa_user_sgpr_queue_ptr 0
		.amdhsa_user_sgpr_kernarg_segment_ptr 1
		.amdhsa_user_sgpr_dispatch_id 0
		.amdhsa_user_sgpr_kernarg_preload_length 0
		.amdhsa_user_sgpr_kernarg_preload_offset 0
		.amdhsa_user_sgpr_private_segment_size 0
		.amdhsa_wavefront_size32 1
		.amdhsa_uses_dynamic_stack 0
		.amdhsa_enable_private_segment 0
		.amdhsa_system_sgpr_workgroup_id_x 1
		.amdhsa_system_sgpr_workgroup_id_y 0
		.amdhsa_system_sgpr_workgroup_id_z 0
		.amdhsa_system_sgpr_workgroup_info 0
		.amdhsa_system_vgpr_workitem_id 0
		.amdhsa_next_free_vgpr 16
		.amdhsa_next_free_sgpr 16
		.amdhsa_named_barrier_count 0
		.amdhsa_reserve_vcc 1
		.amdhsa_float_round_mode_32 0
		.amdhsa_float_round_mode_16_64 0
		.amdhsa_float_denorm_mode_32 3
		.amdhsa_float_denorm_mode_16_64 3
		.amdhsa_fp16_overflow 0
		.amdhsa_memory_ordered 1
		.amdhsa_forward_progress 1
		.amdhsa_inst_pref_size 10
		.amdhsa_round_robin_scheduling 0
		.amdhsa_exception_fp_ieee_invalid_op 0
		.amdhsa_exception_fp_denorm_src 0
		.amdhsa_exception_fp_ieee_div_zero 0
		.amdhsa_exception_fp_ieee_overflow 0
		.amdhsa_exception_fp_ieee_underflow 0
		.amdhsa_exception_fp_ieee_inexact 0
		.amdhsa_exception_int_div_zero 0
	.end_amdhsa_kernel
	.section	.text._ZN9rocsparseL22gebsrmvn_mxn_16_kernelILj112ELj14ELj8E21rocsparse_complex_numIfEEEvi20rocsparse_direction_NS_24const_host_device_scalarIT2_EEPKiS8_PKS5_iiSA_S6_PS5_21rocsparse_index_base_b,"axG",@progbits,_ZN9rocsparseL22gebsrmvn_mxn_16_kernelILj112ELj14ELj8E21rocsparse_complex_numIfEEEvi20rocsparse_direction_NS_24const_host_device_scalarIT2_EEPKiS8_PKS5_iiSA_S6_PS5_21rocsparse_index_base_b,comdat
.Lfunc_end85:
	.size	_ZN9rocsparseL22gebsrmvn_mxn_16_kernelILj112ELj14ELj8E21rocsparse_complex_numIfEEEvi20rocsparse_direction_NS_24const_host_device_scalarIT2_EEPKiS8_PKS5_iiSA_S6_PS5_21rocsparse_index_base_b, .Lfunc_end85-_ZN9rocsparseL22gebsrmvn_mxn_16_kernelILj112ELj14ELj8E21rocsparse_complex_numIfEEEvi20rocsparse_direction_NS_24const_host_device_scalarIT2_EEPKiS8_PKS5_iiSA_S6_PS5_21rocsparse_index_base_b
                                        ; -- End function
	.set _ZN9rocsparseL22gebsrmvn_mxn_16_kernelILj112ELj14ELj8E21rocsparse_complex_numIfEEEvi20rocsparse_direction_NS_24const_host_device_scalarIT2_EEPKiS8_PKS5_iiSA_S6_PS5_21rocsparse_index_base_b.num_vgpr, 16
	.set _ZN9rocsparseL22gebsrmvn_mxn_16_kernelILj112ELj14ELj8E21rocsparse_complex_numIfEEEvi20rocsparse_direction_NS_24const_host_device_scalarIT2_EEPKiS8_PKS5_iiSA_S6_PS5_21rocsparse_index_base_b.num_agpr, 0
	.set _ZN9rocsparseL22gebsrmvn_mxn_16_kernelILj112ELj14ELj8E21rocsparse_complex_numIfEEEvi20rocsparse_direction_NS_24const_host_device_scalarIT2_EEPKiS8_PKS5_iiSA_S6_PS5_21rocsparse_index_base_b.numbered_sgpr, 16
	.set _ZN9rocsparseL22gebsrmvn_mxn_16_kernelILj112ELj14ELj8E21rocsparse_complex_numIfEEEvi20rocsparse_direction_NS_24const_host_device_scalarIT2_EEPKiS8_PKS5_iiSA_S6_PS5_21rocsparse_index_base_b.num_named_barrier, 0
	.set _ZN9rocsparseL22gebsrmvn_mxn_16_kernelILj112ELj14ELj8E21rocsparse_complex_numIfEEEvi20rocsparse_direction_NS_24const_host_device_scalarIT2_EEPKiS8_PKS5_iiSA_S6_PS5_21rocsparse_index_base_b.private_seg_size, 0
	.set _ZN9rocsparseL22gebsrmvn_mxn_16_kernelILj112ELj14ELj8E21rocsparse_complex_numIfEEEvi20rocsparse_direction_NS_24const_host_device_scalarIT2_EEPKiS8_PKS5_iiSA_S6_PS5_21rocsparse_index_base_b.uses_vcc, 1
	.set _ZN9rocsparseL22gebsrmvn_mxn_16_kernelILj112ELj14ELj8E21rocsparse_complex_numIfEEEvi20rocsparse_direction_NS_24const_host_device_scalarIT2_EEPKiS8_PKS5_iiSA_S6_PS5_21rocsparse_index_base_b.uses_flat_scratch, 1
	.set _ZN9rocsparseL22gebsrmvn_mxn_16_kernelILj112ELj14ELj8E21rocsparse_complex_numIfEEEvi20rocsparse_direction_NS_24const_host_device_scalarIT2_EEPKiS8_PKS5_iiSA_S6_PS5_21rocsparse_index_base_b.has_dyn_sized_stack, 0
	.set _ZN9rocsparseL22gebsrmvn_mxn_16_kernelILj112ELj14ELj8E21rocsparse_complex_numIfEEEvi20rocsparse_direction_NS_24const_host_device_scalarIT2_EEPKiS8_PKS5_iiSA_S6_PS5_21rocsparse_index_base_b.has_recursion, 0
	.set _ZN9rocsparseL22gebsrmvn_mxn_16_kernelILj112ELj14ELj8E21rocsparse_complex_numIfEEEvi20rocsparse_direction_NS_24const_host_device_scalarIT2_EEPKiS8_PKS5_iiSA_S6_PS5_21rocsparse_index_base_b.has_indirect_call, 0
	.section	.AMDGPU.csdata,"",@progbits
; Kernel info:
; codeLenInByte = 1180
; TotalNumSgprs: 18
; NumVgprs: 16
; ScratchSize: 0
; MemoryBound: 0
; FloatMode: 240
; IeeeMode: 1
; LDSByteSize: 896 bytes/workgroup (compile time only)
; SGPRBlocks: 0
; VGPRBlocks: 0
; NumSGPRsForWavesPerEU: 18
; NumVGPRsForWavesPerEU: 16
; NamedBarCnt: 0
; Occupancy: 16
; WaveLimiterHint : 1
; COMPUTE_PGM_RSRC2:SCRATCH_EN: 0
; COMPUTE_PGM_RSRC2:USER_SGPR: 2
; COMPUTE_PGM_RSRC2:TRAP_HANDLER: 0
; COMPUTE_PGM_RSRC2:TGID_X_EN: 1
; COMPUTE_PGM_RSRC2:TGID_Y_EN: 0
; COMPUTE_PGM_RSRC2:TGID_Z_EN: 0
; COMPUTE_PGM_RSRC2:TIDIG_COMP_CNT: 0
	.section	.text._ZN9rocsparseL22gebsrmvn_mxn_16_kernelILj60ELj15ELj1E21rocsparse_complex_numIfEEEvi20rocsparse_direction_NS_24const_host_device_scalarIT2_EEPKiS8_PKS5_iiSA_S6_PS5_21rocsparse_index_base_b,"axG",@progbits,_ZN9rocsparseL22gebsrmvn_mxn_16_kernelILj60ELj15ELj1E21rocsparse_complex_numIfEEEvi20rocsparse_direction_NS_24const_host_device_scalarIT2_EEPKiS8_PKS5_iiSA_S6_PS5_21rocsparse_index_base_b,comdat
	.globl	_ZN9rocsparseL22gebsrmvn_mxn_16_kernelILj60ELj15ELj1E21rocsparse_complex_numIfEEEvi20rocsparse_direction_NS_24const_host_device_scalarIT2_EEPKiS8_PKS5_iiSA_S6_PS5_21rocsparse_index_base_b ; -- Begin function _ZN9rocsparseL22gebsrmvn_mxn_16_kernelILj60ELj15ELj1E21rocsparse_complex_numIfEEEvi20rocsparse_direction_NS_24const_host_device_scalarIT2_EEPKiS8_PKS5_iiSA_S6_PS5_21rocsparse_index_base_b
	.p2align	8
	.type	_ZN9rocsparseL22gebsrmvn_mxn_16_kernelILj60ELj15ELj1E21rocsparse_complex_numIfEEEvi20rocsparse_direction_NS_24const_host_device_scalarIT2_EEPKiS8_PKS5_iiSA_S6_PS5_21rocsparse_index_base_b,@function
_ZN9rocsparseL22gebsrmvn_mxn_16_kernelILj60ELj15ELj1E21rocsparse_complex_numIfEEEvi20rocsparse_direction_NS_24const_host_device_scalarIT2_EEPKiS8_PKS5_iiSA_S6_PS5_21rocsparse_index_base_b: ; @_ZN9rocsparseL22gebsrmvn_mxn_16_kernelILj60ELj15ELj1E21rocsparse_complex_numIfEEEvi20rocsparse_direction_NS_24const_host_device_scalarIT2_EEPKiS8_PKS5_iiSA_S6_PS5_21rocsparse_index_base_b
; %bb.0:
	s_clause 0x2
	s_load_b64 s[10:11], s[0:1], 0x48
	s_load_b64 s[2:3], s[0:1], 0x8
	;; [unrolled: 1-line block ×3, first 2 shown]
	v_mov_b32_e32 v1, 0
	s_add_nc_u64 s[6:7], s[0:1], 8
	s_add_nc_u64 s[8:9], s[0:1], 56
	s_wait_kmcnt 0x0
	s_bitcmp1_b32 s11, 0
	s_cselect_b32 s3, s7, s3
	s_cselect_b32 s2, s6, s2
	;; [unrolled: 1-line block ×4, first 2 shown]
	s_clause 0x1
	flat_load_b64 v[2:3], v1, s[2:3]
	flat_load_b64 v[4:5], v1, s[4:5]
	s_wait_loadcnt_dscnt 0x101
	v_cmp_eq_f32_e32 vcc_lo, 0, v2
	v_cmp_eq_f32_e64 s2, 0, v3
	s_wait_loadcnt_dscnt 0x0
	v_cmp_eq_f32_e64 s3, 1.0, v4
	v_cmp_eq_f32_e64 s4, 0, v5
	s_and_b32 s2, vcc_lo, s2
	s_and_b32 s3, s3, s4
	s_mov_b32 s4, -1
	s_and_b32 s2, s2, s3
	s_delay_alu instid0(SALU_CYCLE_1) | instskip(NEXT) | instid1(SALU_CYCLE_1)
	s_xor_b32 s2, s2, -1
	s_and_saveexec_b32 s3, s2
	s_cbranch_execz .LBB86_17
; %bb.1:
	s_load_b64 s[2:3], s[0:1], 0x10
	s_bfe_u32 s5, ttmp6, 0x4000c
	s_and_b32 s6, ttmp6, 15
	s_add_co_i32 s5, s5, 1
	s_getreg_b32 s7, hwreg(HW_REG_IB_STS2, 6, 4)
	s_mul_i32 s5, ttmp9, s5
	s_delay_alu instid0(SALU_CYCLE_1) | instskip(SKIP_2) | instid1(SALU_CYCLE_1)
	s_add_co_i32 s6, s6, s5
	s_cmp_eq_u32 s7, 0
	s_cselect_b32 s8, ttmp9, s6
	s_ashr_i32 s9, s8, 31
	s_delay_alu instid0(SALU_CYCLE_1)
	s_lshl_b64 s[6:7], s[8:9], 2
	s_wait_kmcnt 0x0
	s_add_nc_u64 s[2:3], s[2:3], s[6:7]
	s_load_b64 s[14:15], s[2:3], 0x0
	s_wait_kmcnt 0x0
	s_cmp_lt_i32 s14, s15
	s_cbranch_scc1 .LBB86_3
; %bb.2:
	s_mov_b32 s4, 0
.LBB86_3:
	s_load_b64 s[2:3], s[0:1], 0x40
	v_mov_b32_e32 v7, 0
	s_and_not1_b32 vcc_lo, exec_lo, s4
	s_delay_alu instid0(VALU_DEP_1)
	v_mov_b32_e32 v6, v7
	s_cbranch_vccnz .LBB86_8
; %bb.4:
	s_clause 0x1
	s_load_b128 s[4:7], s[0:1], 0x18
	s_load_b64 s[12:13], s[0:1], 0x30
	v_mad_u32 v7, s14, 15, v0
	v_mul_u32_u24_e32 v1, 0x1112, v0
	v_mov_b32_e32 v6, 0
	s_wait_xcnt 0x0
	s_mul_i32 s0, s10, 15
	s_sub_co_i32 s1, s14, s10
	v_lshrrev_b32_e32 v1, 16, v1
	s_delay_alu instid0(VALU_DEP_4)
	v_subrev_nc_u32_e32 v8, s0, v7
	v_mov_b32_e32 v7, v6
	s_sub_co_i32 s0, s15, s10
	s_branch .LBB86_6
.LBB86_5:                               ;   in Loop: Header=BB86_6 Depth=1
	s_or_b32 exec_lo, exec_lo, s9
	v_add_nc_u32_e32 v8, 60, v8
	s_add_co_i32 s1, s1, 4
	s_delay_alu instid0(SALU_CYCLE_1)
	s_cmp_ge_i32 s1, s0
	s_cbranch_scc1 .LBB86_8
.LBB86_6:                               ; =>This Inner Loop Header: Depth=1
	v_add_nc_u32_e32 v9, s1, v1
	s_mov_b32 s9, exec_lo
	s_delay_alu instid0(VALU_DEP_1)
	v_cmpx_gt_i32_e64 s0, v9
	s_cbranch_execz .LBB86_5
; %bb.7:                                ;   in Loop: Header=BB86_6 Depth=1
	s_wait_kmcnt 0x0
	global_load_b32 v9, v9, s[4:5] scale_offset
	s_wait_loadcnt 0x0
	v_subrev_nc_u32_e32 v9, s10, v9
	global_load_b64 v[10:11], v9, s[12:13] scale_offset
	global_load_b64 v[12:13], v8, s[6:7] scale_offset
	s_wait_loadcnt 0x0
	v_pk_fma_f32 v[6:7], v[12:13], v[10:11], v[6:7] op_sel_hi:[1,0,1]
	s_delay_alu instid0(VALU_DEP_1)
	v_pk_fma_f32 v[6:7], v[12:13], v[10:11], v[6:7] op_sel:[1,1,0] op_sel_hi:[0,1,1] neg_lo:[1,0,0]
	s_branch .LBB86_5
.LBB86_8:
	v_lshlrev_b32_e32 v1, 3, v0
	s_wait_xcnt 0x0
	s_mov_b32 s0, exec_lo
	ds_store_b64 v1, v[6:7]
	s_wait_dscnt 0x0
	s_barrier_signal -1
	s_barrier_wait -1
	v_cmpx_gt_u32_e32 30, v0
	s_cbranch_execz .LBB86_10
; %bb.9:
	ds_load_2addr_b64 v[6:9], v1 offset1:30
	s_wait_dscnt 0x0
	v_pk_add_f32 v[6:7], v[8:9], v[6:7]
	ds_store_b64 v1, v[6:7]
.LBB86_10:
	s_or_b32 exec_lo, exec_lo, s0
	v_cmp_gt_u32_e32 vcc_lo, 15, v0
	s_wait_dscnt 0x0
	s_barrier_signal -1
	s_barrier_wait -1
	s_and_saveexec_b32 s0, vcc_lo
	s_cbranch_execz .LBB86_12
; %bb.11:
	ds_load_2addr_b64 v[6:9], v1 offset1:15
	s_wait_dscnt 0x0
	v_pk_add_f32 v[6:7], v[8:9], v[6:7]
	ds_store_b64 v1, v[6:7]
.LBB86_12:
	s_or_b32 exec_lo, exec_lo, s0
	s_wait_dscnt 0x0
	s_barrier_signal -1
	s_barrier_wait -1
	s_and_b32 exec_lo, exec_lo, vcc_lo
	s_cbranch_execz .LBB86_17
; %bb.13:
	ds_load_b64 v[6:7], v1
	v_mad_u32 v8, s8, 15, v0
	v_cmp_eq_f32_e32 vcc_lo, 0, v4
	v_cmp_eq_f32_e64 s0, 0, v5
	v_xor_b32_e32 v0, 0x80000000, v3
	s_and_b32 s0, vcc_lo, s0
	s_delay_alu instid0(SALU_CYCLE_1) | instskip(NEXT) | instid1(SALU_CYCLE_1)
	s_and_saveexec_b32 s1, s0
	s_xor_b32 s0, exec_lo, s1
	s_cbranch_execz .LBB86_15
; %bb.14:
	s_wait_dscnt 0x0
	v_dual_mov_b32 v4, v7 :: v_dual_mov_b32 v1, v2
	s_delay_alu instid0(VALU_DEP_1) | instskip(NEXT) | instid1(VALU_DEP_1)
	v_pk_mul_f32 v[0:1], v[4:5], v[0:1] op_sel_hi:[0,1]
                                        ; implicit-def: $vgpr4_vgpr5
	v_pk_fma_f32 v[0:1], v[2:3], v[6:7], v[0:1] op_sel_hi:[1,0,1]
                                        ; implicit-def: $vgpr7
                                        ; implicit-def: $vgpr2_vgpr3
	s_wait_kmcnt 0x0
	global_store_b64 v8, v[0:1], s[2:3] scale_offset
                                        ; implicit-def: $vgpr8
                                        ; implicit-def: $vgpr0
.LBB86_15:
	s_wait_xcnt 0x0
	s_and_not1_saveexec_b32 s0, s0
	s_cbranch_execz .LBB86_17
; %bb.16:
	s_wait_kmcnt 0x0
	global_load_b64 v[10:11], v8, s[2:3] scale_offset
	s_wait_dscnt 0x0
	v_dual_mov_b32 v12, v7 :: v_dual_mov_b32 v1, v2
	s_delay_alu instid0(VALU_DEP_1) | instskip(NEXT) | instid1(VALU_DEP_1)
	v_pk_mul_f32 v[0:1], v[12:13], v[0:1] op_sel_hi:[0,1]
	v_pk_fma_f32 v[0:1], v[2:3], v[6:7], v[0:1] op_sel_hi:[1,0,1]
	v_xor_b32_e32 v2, 0x80000000, v5
	v_mov_b32_e32 v3, v4
	s_wait_loadcnt 0x0
	s_delay_alu instid0(VALU_DEP_3) | instskip(NEXT) | instid1(VALU_DEP_1)
	v_pk_fma_f32 v[0:1], v[4:5], v[10:11], v[0:1] op_sel_hi:[1,0,1]
	v_pk_fma_f32 v[0:1], v[2:3], v[10:11], v[0:1] op_sel:[0,1,0]
	global_store_b64 v8, v[0:1], s[2:3] scale_offset
.LBB86_17:
	s_endpgm
	.section	.rodata,"a",@progbits
	.p2align	6, 0x0
	.amdhsa_kernel _ZN9rocsparseL22gebsrmvn_mxn_16_kernelILj60ELj15ELj1E21rocsparse_complex_numIfEEEvi20rocsparse_direction_NS_24const_host_device_scalarIT2_EEPKiS8_PKS5_iiSA_S6_PS5_21rocsparse_index_base_b
		.amdhsa_group_segment_fixed_size 480
		.amdhsa_private_segment_fixed_size 0
		.amdhsa_kernarg_size 80
		.amdhsa_user_sgpr_count 2
		.amdhsa_user_sgpr_dispatch_ptr 0
		.amdhsa_user_sgpr_queue_ptr 0
		.amdhsa_user_sgpr_kernarg_segment_ptr 1
		.amdhsa_user_sgpr_dispatch_id 0
		.amdhsa_user_sgpr_kernarg_preload_length 0
		.amdhsa_user_sgpr_kernarg_preload_offset 0
		.amdhsa_user_sgpr_private_segment_size 0
		.amdhsa_wavefront_size32 1
		.amdhsa_uses_dynamic_stack 0
		.amdhsa_enable_private_segment 0
		.amdhsa_system_sgpr_workgroup_id_x 1
		.amdhsa_system_sgpr_workgroup_id_y 0
		.amdhsa_system_sgpr_workgroup_id_z 0
		.amdhsa_system_sgpr_workgroup_info 0
		.amdhsa_system_vgpr_workitem_id 0
		.amdhsa_next_free_vgpr 14
		.amdhsa_next_free_sgpr 16
		.amdhsa_named_barrier_count 0
		.amdhsa_reserve_vcc 1
		.amdhsa_float_round_mode_32 0
		.amdhsa_float_round_mode_16_64 0
		.amdhsa_float_denorm_mode_32 3
		.amdhsa_float_denorm_mode_16_64 3
		.amdhsa_fp16_overflow 0
		.amdhsa_memory_ordered 1
		.amdhsa_forward_progress 1
		.amdhsa_inst_pref_size 7
		.amdhsa_round_robin_scheduling 0
		.amdhsa_exception_fp_ieee_invalid_op 0
		.amdhsa_exception_fp_denorm_src 0
		.amdhsa_exception_fp_ieee_div_zero 0
		.amdhsa_exception_fp_ieee_overflow 0
		.amdhsa_exception_fp_ieee_underflow 0
		.amdhsa_exception_fp_ieee_inexact 0
		.amdhsa_exception_int_div_zero 0
	.end_amdhsa_kernel
	.section	.text._ZN9rocsparseL22gebsrmvn_mxn_16_kernelILj60ELj15ELj1E21rocsparse_complex_numIfEEEvi20rocsparse_direction_NS_24const_host_device_scalarIT2_EEPKiS8_PKS5_iiSA_S6_PS5_21rocsparse_index_base_b,"axG",@progbits,_ZN9rocsparseL22gebsrmvn_mxn_16_kernelILj60ELj15ELj1E21rocsparse_complex_numIfEEEvi20rocsparse_direction_NS_24const_host_device_scalarIT2_EEPKiS8_PKS5_iiSA_S6_PS5_21rocsparse_index_base_b,comdat
.Lfunc_end86:
	.size	_ZN9rocsparseL22gebsrmvn_mxn_16_kernelILj60ELj15ELj1E21rocsparse_complex_numIfEEEvi20rocsparse_direction_NS_24const_host_device_scalarIT2_EEPKiS8_PKS5_iiSA_S6_PS5_21rocsparse_index_base_b, .Lfunc_end86-_ZN9rocsparseL22gebsrmvn_mxn_16_kernelILj60ELj15ELj1E21rocsparse_complex_numIfEEEvi20rocsparse_direction_NS_24const_host_device_scalarIT2_EEPKiS8_PKS5_iiSA_S6_PS5_21rocsparse_index_base_b
                                        ; -- End function
	.set _ZN9rocsparseL22gebsrmvn_mxn_16_kernelILj60ELj15ELj1E21rocsparse_complex_numIfEEEvi20rocsparse_direction_NS_24const_host_device_scalarIT2_EEPKiS8_PKS5_iiSA_S6_PS5_21rocsparse_index_base_b.num_vgpr, 14
	.set _ZN9rocsparseL22gebsrmvn_mxn_16_kernelILj60ELj15ELj1E21rocsparse_complex_numIfEEEvi20rocsparse_direction_NS_24const_host_device_scalarIT2_EEPKiS8_PKS5_iiSA_S6_PS5_21rocsparse_index_base_b.num_agpr, 0
	.set _ZN9rocsparseL22gebsrmvn_mxn_16_kernelILj60ELj15ELj1E21rocsparse_complex_numIfEEEvi20rocsparse_direction_NS_24const_host_device_scalarIT2_EEPKiS8_PKS5_iiSA_S6_PS5_21rocsparse_index_base_b.numbered_sgpr, 16
	.set _ZN9rocsparseL22gebsrmvn_mxn_16_kernelILj60ELj15ELj1E21rocsparse_complex_numIfEEEvi20rocsparse_direction_NS_24const_host_device_scalarIT2_EEPKiS8_PKS5_iiSA_S6_PS5_21rocsparse_index_base_b.num_named_barrier, 0
	.set _ZN9rocsparseL22gebsrmvn_mxn_16_kernelILj60ELj15ELj1E21rocsparse_complex_numIfEEEvi20rocsparse_direction_NS_24const_host_device_scalarIT2_EEPKiS8_PKS5_iiSA_S6_PS5_21rocsparse_index_base_b.private_seg_size, 0
	.set _ZN9rocsparseL22gebsrmvn_mxn_16_kernelILj60ELj15ELj1E21rocsparse_complex_numIfEEEvi20rocsparse_direction_NS_24const_host_device_scalarIT2_EEPKiS8_PKS5_iiSA_S6_PS5_21rocsparse_index_base_b.uses_vcc, 1
	.set _ZN9rocsparseL22gebsrmvn_mxn_16_kernelILj60ELj15ELj1E21rocsparse_complex_numIfEEEvi20rocsparse_direction_NS_24const_host_device_scalarIT2_EEPKiS8_PKS5_iiSA_S6_PS5_21rocsparse_index_base_b.uses_flat_scratch, 1
	.set _ZN9rocsparseL22gebsrmvn_mxn_16_kernelILj60ELj15ELj1E21rocsparse_complex_numIfEEEvi20rocsparse_direction_NS_24const_host_device_scalarIT2_EEPKiS8_PKS5_iiSA_S6_PS5_21rocsparse_index_base_b.has_dyn_sized_stack, 0
	.set _ZN9rocsparseL22gebsrmvn_mxn_16_kernelILj60ELj15ELj1E21rocsparse_complex_numIfEEEvi20rocsparse_direction_NS_24const_host_device_scalarIT2_EEPKiS8_PKS5_iiSA_S6_PS5_21rocsparse_index_base_b.has_recursion, 0
	.set _ZN9rocsparseL22gebsrmvn_mxn_16_kernelILj60ELj15ELj1E21rocsparse_complex_numIfEEEvi20rocsparse_direction_NS_24const_host_device_scalarIT2_EEPKiS8_PKS5_iiSA_S6_PS5_21rocsparse_index_base_b.has_indirect_call, 0
	.section	.AMDGPU.csdata,"",@progbits
; Kernel info:
; codeLenInByte = 844
; TotalNumSgprs: 18
; NumVgprs: 14
; ScratchSize: 0
; MemoryBound: 0
; FloatMode: 240
; IeeeMode: 1
; LDSByteSize: 480 bytes/workgroup (compile time only)
; SGPRBlocks: 0
; VGPRBlocks: 0
; NumSGPRsForWavesPerEU: 18
; NumVGPRsForWavesPerEU: 14
; NamedBarCnt: 0
; Occupancy: 16
; WaveLimiterHint : 1
; COMPUTE_PGM_RSRC2:SCRATCH_EN: 0
; COMPUTE_PGM_RSRC2:USER_SGPR: 2
; COMPUTE_PGM_RSRC2:TRAP_HANDLER: 0
; COMPUTE_PGM_RSRC2:TGID_X_EN: 1
; COMPUTE_PGM_RSRC2:TGID_Y_EN: 0
; COMPUTE_PGM_RSRC2:TGID_Z_EN: 0
; COMPUTE_PGM_RSRC2:TIDIG_COMP_CNT: 0
	.section	.text._ZN9rocsparseL22gebsrmvn_mxn_16_kernelILj60ELj15ELj2E21rocsparse_complex_numIfEEEvi20rocsparse_direction_NS_24const_host_device_scalarIT2_EEPKiS8_PKS5_iiSA_S6_PS5_21rocsparse_index_base_b,"axG",@progbits,_ZN9rocsparseL22gebsrmvn_mxn_16_kernelILj60ELj15ELj2E21rocsparse_complex_numIfEEEvi20rocsparse_direction_NS_24const_host_device_scalarIT2_EEPKiS8_PKS5_iiSA_S6_PS5_21rocsparse_index_base_b,comdat
	.globl	_ZN9rocsparseL22gebsrmvn_mxn_16_kernelILj60ELj15ELj2E21rocsparse_complex_numIfEEEvi20rocsparse_direction_NS_24const_host_device_scalarIT2_EEPKiS8_PKS5_iiSA_S6_PS5_21rocsparse_index_base_b ; -- Begin function _ZN9rocsparseL22gebsrmvn_mxn_16_kernelILj60ELj15ELj2E21rocsparse_complex_numIfEEEvi20rocsparse_direction_NS_24const_host_device_scalarIT2_EEPKiS8_PKS5_iiSA_S6_PS5_21rocsparse_index_base_b
	.p2align	8
	.type	_ZN9rocsparseL22gebsrmvn_mxn_16_kernelILj60ELj15ELj2E21rocsparse_complex_numIfEEEvi20rocsparse_direction_NS_24const_host_device_scalarIT2_EEPKiS8_PKS5_iiSA_S6_PS5_21rocsparse_index_base_b,@function
_ZN9rocsparseL22gebsrmvn_mxn_16_kernelILj60ELj15ELj2E21rocsparse_complex_numIfEEEvi20rocsparse_direction_NS_24const_host_device_scalarIT2_EEPKiS8_PKS5_iiSA_S6_PS5_21rocsparse_index_base_b: ; @_ZN9rocsparseL22gebsrmvn_mxn_16_kernelILj60ELj15ELj2E21rocsparse_complex_numIfEEEvi20rocsparse_direction_NS_24const_host_device_scalarIT2_EEPKiS8_PKS5_iiSA_S6_PS5_21rocsparse_index_base_b
; %bb.0:
	s_clause 0x2
	s_load_b64 s[10:11], s[0:1], 0x48
	s_load_b64 s[2:3], s[0:1], 0x8
	;; [unrolled: 1-line block ×3, first 2 shown]
	v_mov_b32_e32 v1, 0
	s_add_nc_u64 s[6:7], s[0:1], 8
	s_add_nc_u64 s[8:9], s[0:1], 56
	s_wait_kmcnt 0x0
	s_bitcmp1_b32 s11, 0
	s_cselect_b32 s3, s7, s3
	s_cselect_b32 s2, s6, s2
	;; [unrolled: 1-line block ×4, first 2 shown]
	s_clause 0x1
	flat_load_b64 v[2:3], v1, s[2:3]
	flat_load_b64 v[4:5], v1, s[4:5]
	s_wait_loadcnt_dscnt 0x101
	v_cmp_eq_f32_e32 vcc_lo, 0, v2
	v_cmp_eq_f32_e64 s2, 0, v3
	s_wait_loadcnt_dscnt 0x0
	v_cmp_eq_f32_e64 s3, 1.0, v4
	v_cmp_eq_f32_e64 s4, 0, v5
	s_and_b32 s2, vcc_lo, s2
	s_and_b32 s3, s3, s4
	s_delay_alu instid0(SALU_CYCLE_1) | instskip(NEXT) | instid1(SALU_CYCLE_1)
	s_and_b32 s2, s2, s3
	s_xor_b32 s2, s2, -1
	s_delay_alu instid0(SALU_CYCLE_1)
	s_and_saveexec_b32 s3, s2
	s_cbranch_execz .LBB87_28
; %bb.1:
	s_clause 0x1
	s_load_b32 s4, s[0:1], 0x4
	s_load_b64 s[2:3], s[0:1], 0x10
	v_and_b32_e32 v1, 1, v0
	s_delay_alu instid0(VALU_DEP_1) | instskip(SKIP_3) | instid1(SALU_CYCLE_1)
	v_mov_b32_e32 v8, v1
	s_wait_kmcnt 0x0
	s_cmp_lg_u32 s4, 1
	s_cselect_b32 s11, -1, 0
	s_and_b32 vcc_lo, exec_lo, s11
	s_cbranch_vccnz .LBB87_3
; %bb.2:
	v_mul_u32_u24_e32 v6, 0x1112, v0
	s_delay_alu instid0(VALU_DEP_1)
	v_bfe_u32 v8, v6, 16, 1
.LBB87_3:
	s_bfe_u32 s4, ttmp6, 0x4000c
	s_and_b32 s5, ttmp6, 15
	s_add_co_i32 s4, s4, 1
	s_getreg_b32 s6, hwreg(HW_REG_IB_STS2, 6, 4)
	s_mul_i32 s4, ttmp9, s4
	s_delay_alu instid0(SALU_CYCLE_1) | instskip(SKIP_2) | instid1(SALU_CYCLE_1)
	s_add_co_i32 s5, s5, s4
	s_cmp_eq_u32 s6, 0
	s_cselect_b32 s8, ttmp9, s5
	s_ashr_i32 s9, s8, 31
	s_delay_alu instid0(SALU_CYCLE_1) | instskip(NEXT) | instid1(SALU_CYCLE_1)
	s_lshl_b64 s[4:5], s[8:9], 2
	s_add_nc_u64 s[4:5], s[2:3], s[4:5]
	s_load_b64 s[14:15], s[4:5], 0x0
	s_load_b64 s[2:3], s[0:1], 0x40
	s_wait_kmcnt 0x0
	s_cmp_ge_i32 s14, s15
	s_cbranch_scc1 .LBB87_8
; %bb.4:
	s_clause 0x1
	s_load_b128 s[4:7], s[0:1], 0x18
	s_load_b64 s[12:13], s[0:1], 0x30
	v_mad_u32 v10, s14, 30, v0
	v_mul_u32_u24_e32 v9, 0x889, v0
	s_wait_xcnt 0x0
	s_mul_i32 s0, s10, 30
	v_mov_b64_e32 v[6:7], 0
	s_sub_co_i32 s1, s14, s10
	v_lshrrev_b32_e32 v9, 16, v9
	s_delay_alu instid0(VALU_DEP_4)
	v_subrev_nc_u32_e32 v10, s0, v10
	s_sub_co_i32 s0, s15, s10
	s_branch .LBB87_6
.LBB87_5:                               ;   in Loop: Header=BB87_6 Depth=1
	s_or_b32 exec_lo, exec_lo, s9
	v_add_nc_u32_e32 v10, 60, v10
	s_add_co_i32 s1, s1, 2
	s_delay_alu instid0(SALU_CYCLE_1)
	s_cmp_ge_i32 s1, s0
	s_cbranch_scc1 .LBB87_9
.LBB87_6:                               ; =>This Inner Loop Header: Depth=1
	s_delay_alu instid0(VALU_DEP_2) | instskip(SKIP_1) | instid1(VALU_DEP_1)
	v_add_nc_u32_e32 v11, s1, v9
	s_mov_b32 s9, exec_lo
	v_cmpx_gt_i32_e64 s0, v11
	s_cbranch_execz .LBB87_5
; %bb.7:                                ;   in Loop: Header=BB87_6 Depth=1
	s_wait_kmcnt 0x0
	global_load_b32 v11, v11, s[4:5] scale_offset
	s_wait_loadcnt 0x0
	v_subrev_nc_u32_e32 v11, s10, v11
	s_delay_alu instid0(VALU_DEP_1) | instskip(SKIP_4) | instid1(VALU_DEP_1)
	v_lshl_or_b32 v11, v11, 1, v8
	global_load_b64 v[12:13], v11, s[12:13] scale_offset
	global_load_b64 v[14:15], v10, s[6:7] scale_offset
	s_wait_loadcnt 0x0
	v_pk_fma_f32 v[6:7], v[14:15], v[12:13], v[6:7] op_sel_hi:[1,0,1]
	v_pk_fma_f32 v[6:7], v[14:15], v[12:13], v[6:7] op_sel:[1,1,0] op_sel_hi:[0,1,1] neg_lo:[1,0,0]
	s_branch .LBB87_5
.LBB87_8:
	v_mov_b64_e32 v[6:7], 0
.LBB87_9:
	v_lshlrev_b32_e32 v10, 3, v0
	s_mov_b32 s0, exec_lo
	ds_store_b64 v10, v[6:7]
	s_wait_dscnt 0x0
	s_barrier_signal -1
	s_barrier_wait -1
	v_cmpx_gt_u32_e32 30, v0
	s_cbranch_execz .LBB87_11
; %bb.10:
	ds_load_2addr_b64 v[12:15], v10 offset1:30
	s_wait_dscnt 0x0
	v_pk_add_f32 v[8:9], v[14:15], v[12:13]
	ds_store_b64 v10, v[8:9]
.LBB87_11:
	s_or_b32 exec_lo, exec_lo, s0
	s_delay_alu instid0(SALU_CYCLE_1)
	s_and_b32 vcc_lo, exec_lo, s11
	s_wait_dscnt 0x0
	s_barrier_signal -1
	s_barrier_wait -1
	s_cbranch_vccz .LBB87_17
; %bb.12:
	s_mov_b32 s0, exec_lo
	v_cmpx_eq_u32_e32 0, v1
	s_cbranch_execz .LBB87_14
; %bb.13:
	ds_load_2addr_b64 v[12:15], v10 offset1:1
	s_wait_dscnt 0x0
	v_pk_add_f32 v[8:9], v[14:15], v[12:13]
	ds_store_b64 v10, v[8:9]
.LBB87_14:
	s_or_b32 exec_lo, exec_lo, s0
	v_mov_b64_e32 v[8:9], v[6:7]
	s_mov_b32 s0, exec_lo
	s_wait_dscnt 0x0
	s_barrier_signal -1
	s_barrier_wait -1
	v_cmpx_gt_u32_e32 15, v0
; %bb.15:
	v_lshl_add_u32 v1, v0, 3, v10
	ds_load_b64 v[8:9], v1
; %bb.16:
	s_or_b32 exec_lo, exec_lo, s0
	s_branch .LBB87_23
.LBB87_17:
                                        ; implicit-def: $vgpr8_vgpr9
	s_cbranch_execz .LBB87_23
; %bb.18:
	s_mov_b32 s0, exec_lo
	v_cmpx_lt_u32_e32 14, v0
	s_xor_b32 s0, exec_lo, s0
	s_cbranch_execz .LBB87_20
; %bb.19:
	s_wait_dscnt 0x0
                                        ; implicit-def: $vgpr10
.LBB87_20:
	s_and_not1_saveexec_b32 s0, s0
	s_cbranch_execz .LBB87_22
; %bb.21:
	s_wait_dscnt 0x0
	ds_load_2addr_b64 v[6:9], v10 offset1:15
	s_wait_dscnt 0x0
	v_pk_add_f32 v[6:7], v[8:9], v[6:7]
	ds_store_b64 v10, v[6:7]
	s_wait_dscnt 0x0
	ds_load_b64 v[6:7], v10
.LBB87_22:
	s_or_b32 exec_lo, exec_lo, s0
	s_wait_dscnt 0x0
	v_mov_b64_e32 v[8:9], v[6:7]
.LBB87_23:
	v_cmp_gt_u32_e32 vcc_lo, 15, v0
	s_and_b32 exec_lo, exec_lo, vcc_lo
	s_cbranch_execz .LBB87_28
; %bb.24:
	v_mad_u32 v6, s8, 15, v0
	v_cmp_eq_f32_e32 vcc_lo, 0, v4
	v_cmp_eq_f32_e64 s0, 0, v5
	v_xor_b32_e32 v0, 0x80000000, v3
	s_and_b32 s0, vcc_lo, s0
	s_delay_alu instid0(SALU_CYCLE_1) | instskip(NEXT) | instid1(SALU_CYCLE_1)
	s_and_saveexec_b32 s1, s0
	s_xor_b32 s0, exec_lo, s1
	s_cbranch_execz .LBB87_26
; %bb.25:
	v_mov_b32_e32 v1, v2
                                        ; implicit-def: $vgpr4_vgpr5
	s_wait_dscnt 0x0
	s_delay_alu instid0(VALU_DEP_1) | instskip(NEXT) | instid1(VALU_DEP_1)
	v_pk_mul_f32 v[0:1], v[8:9], v[0:1] op_sel:[1,0]
	v_pk_fma_f32 v[0:1], v[2:3], v[8:9], v[0:1] op_sel_hi:[1,0,1]
                                        ; implicit-def: $vgpr2_vgpr3
                                        ; implicit-def: $vgpr8_vgpr9
	global_store_b64 v6, v[0:1], s[2:3] scale_offset
                                        ; implicit-def: $vgpr6
                                        ; implicit-def: $vgpr0
.LBB87_26:
	s_wait_xcnt 0x0
	s_and_not1_saveexec_b32 s0, s0
	s_cbranch_execz .LBB87_28
; %bb.27:
	global_load_b64 v[10:11], v6, s[2:3] scale_offset
	v_mov_b32_e32 v1, v2
	s_wait_dscnt 0x0
	s_delay_alu instid0(VALU_DEP_1) | instskip(NEXT) | instid1(VALU_DEP_1)
	v_pk_mul_f32 v[0:1], v[8:9], v[0:1] op_sel:[1,0]
	v_pk_fma_f32 v[0:1], v[2:3], v[8:9], v[0:1] op_sel_hi:[1,0,1]
	v_xor_b32_e32 v2, 0x80000000, v5
	v_mov_b32_e32 v3, v4
	s_wait_loadcnt 0x0
	s_delay_alu instid0(VALU_DEP_3) | instskip(NEXT) | instid1(VALU_DEP_1)
	v_pk_fma_f32 v[0:1], v[4:5], v[10:11], v[0:1] op_sel_hi:[1,0,1]
	v_pk_fma_f32 v[0:1], v[2:3], v[10:11], v[0:1] op_sel:[0,1,0]
	global_store_b64 v6, v[0:1], s[2:3] scale_offset
.LBB87_28:
	s_endpgm
	.section	.rodata,"a",@progbits
	.p2align	6, 0x0
	.amdhsa_kernel _ZN9rocsparseL22gebsrmvn_mxn_16_kernelILj60ELj15ELj2E21rocsparse_complex_numIfEEEvi20rocsparse_direction_NS_24const_host_device_scalarIT2_EEPKiS8_PKS5_iiSA_S6_PS5_21rocsparse_index_base_b
		.amdhsa_group_segment_fixed_size 480
		.amdhsa_private_segment_fixed_size 0
		.amdhsa_kernarg_size 80
		.amdhsa_user_sgpr_count 2
		.amdhsa_user_sgpr_dispatch_ptr 0
		.amdhsa_user_sgpr_queue_ptr 0
		.amdhsa_user_sgpr_kernarg_segment_ptr 1
		.amdhsa_user_sgpr_dispatch_id 0
		.amdhsa_user_sgpr_kernarg_preload_length 0
		.amdhsa_user_sgpr_kernarg_preload_offset 0
		.amdhsa_user_sgpr_private_segment_size 0
		.amdhsa_wavefront_size32 1
		.amdhsa_uses_dynamic_stack 0
		.amdhsa_enable_private_segment 0
		.amdhsa_system_sgpr_workgroup_id_x 1
		.amdhsa_system_sgpr_workgroup_id_y 0
		.amdhsa_system_sgpr_workgroup_id_z 0
		.amdhsa_system_sgpr_workgroup_info 0
		.amdhsa_system_vgpr_workitem_id 0
		.amdhsa_next_free_vgpr 16
		.amdhsa_next_free_sgpr 16
		.amdhsa_named_barrier_count 0
		.amdhsa_reserve_vcc 1
		.amdhsa_float_round_mode_32 0
		.amdhsa_float_round_mode_16_64 0
		.amdhsa_float_denorm_mode_32 3
		.amdhsa_float_denorm_mode_16_64 3
		.amdhsa_fp16_overflow 0
		.amdhsa_memory_ordered 1
		.amdhsa_forward_progress 1
		.amdhsa_inst_pref_size 8
		.amdhsa_round_robin_scheduling 0
		.amdhsa_exception_fp_ieee_invalid_op 0
		.amdhsa_exception_fp_denorm_src 0
		.amdhsa_exception_fp_ieee_div_zero 0
		.amdhsa_exception_fp_ieee_overflow 0
		.amdhsa_exception_fp_ieee_underflow 0
		.amdhsa_exception_fp_ieee_inexact 0
		.amdhsa_exception_int_div_zero 0
	.end_amdhsa_kernel
	.section	.text._ZN9rocsparseL22gebsrmvn_mxn_16_kernelILj60ELj15ELj2E21rocsparse_complex_numIfEEEvi20rocsparse_direction_NS_24const_host_device_scalarIT2_EEPKiS8_PKS5_iiSA_S6_PS5_21rocsparse_index_base_b,"axG",@progbits,_ZN9rocsparseL22gebsrmvn_mxn_16_kernelILj60ELj15ELj2E21rocsparse_complex_numIfEEEvi20rocsparse_direction_NS_24const_host_device_scalarIT2_EEPKiS8_PKS5_iiSA_S6_PS5_21rocsparse_index_base_b,comdat
.Lfunc_end87:
	.size	_ZN9rocsparseL22gebsrmvn_mxn_16_kernelILj60ELj15ELj2E21rocsparse_complex_numIfEEEvi20rocsparse_direction_NS_24const_host_device_scalarIT2_EEPKiS8_PKS5_iiSA_S6_PS5_21rocsparse_index_base_b, .Lfunc_end87-_ZN9rocsparseL22gebsrmvn_mxn_16_kernelILj60ELj15ELj2E21rocsparse_complex_numIfEEEvi20rocsparse_direction_NS_24const_host_device_scalarIT2_EEPKiS8_PKS5_iiSA_S6_PS5_21rocsparse_index_base_b
                                        ; -- End function
	.set _ZN9rocsparseL22gebsrmvn_mxn_16_kernelILj60ELj15ELj2E21rocsparse_complex_numIfEEEvi20rocsparse_direction_NS_24const_host_device_scalarIT2_EEPKiS8_PKS5_iiSA_S6_PS5_21rocsparse_index_base_b.num_vgpr, 16
	.set _ZN9rocsparseL22gebsrmvn_mxn_16_kernelILj60ELj15ELj2E21rocsparse_complex_numIfEEEvi20rocsparse_direction_NS_24const_host_device_scalarIT2_EEPKiS8_PKS5_iiSA_S6_PS5_21rocsparse_index_base_b.num_agpr, 0
	.set _ZN9rocsparseL22gebsrmvn_mxn_16_kernelILj60ELj15ELj2E21rocsparse_complex_numIfEEEvi20rocsparse_direction_NS_24const_host_device_scalarIT2_EEPKiS8_PKS5_iiSA_S6_PS5_21rocsparse_index_base_b.numbered_sgpr, 16
	.set _ZN9rocsparseL22gebsrmvn_mxn_16_kernelILj60ELj15ELj2E21rocsparse_complex_numIfEEEvi20rocsparse_direction_NS_24const_host_device_scalarIT2_EEPKiS8_PKS5_iiSA_S6_PS5_21rocsparse_index_base_b.num_named_barrier, 0
	.set _ZN9rocsparseL22gebsrmvn_mxn_16_kernelILj60ELj15ELj2E21rocsparse_complex_numIfEEEvi20rocsparse_direction_NS_24const_host_device_scalarIT2_EEPKiS8_PKS5_iiSA_S6_PS5_21rocsparse_index_base_b.private_seg_size, 0
	.set _ZN9rocsparseL22gebsrmvn_mxn_16_kernelILj60ELj15ELj2E21rocsparse_complex_numIfEEEvi20rocsparse_direction_NS_24const_host_device_scalarIT2_EEPKiS8_PKS5_iiSA_S6_PS5_21rocsparse_index_base_b.uses_vcc, 1
	.set _ZN9rocsparseL22gebsrmvn_mxn_16_kernelILj60ELj15ELj2E21rocsparse_complex_numIfEEEvi20rocsparse_direction_NS_24const_host_device_scalarIT2_EEPKiS8_PKS5_iiSA_S6_PS5_21rocsparse_index_base_b.uses_flat_scratch, 1
	.set _ZN9rocsparseL22gebsrmvn_mxn_16_kernelILj60ELj15ELj2E21rocsparse_complex_numIfEEEvi20rocsparse_direction_NS_24const_host_device_scalarIT2_EEPKiS8_PKS5_iiSA_S6_PS5_21rocsparse_index_base_b.has_dyn_sized_stack, 0
	.set _ZN9rocsparseL22gebsrmvn_mxn_16_kernelILj60ELj15ELj2E21rocsparse_complex_numIfEEEvi20rocsparse_direction_NS_24const_host_device_scalarIT2_EEPKiS8_PKS5_iiSA_S6_PS5_21rocsparse_index_base_b.has_recursion, 0
	.set _ZN9rocsparseL22gebsrmvn_mxn_16_kernelILj60ELj15ELj2E21rocsparse_complex_numIfEEEvi20rocsparse_direction_NS_24const_host_device_scalarIT2_EEPKiS8_PKS5_iiSA_S6_PS5_21rocsparse_index_base_b.has_indirect_call, 0
	.section	.AMDGPU.csdata,"",@progbits
; Kernel info:
; codeLenInByte = 1000
; TotalNumSgprs: 18
; NumVgprs: 16
; ScratchSize: 0
; MemoryBound: 0
; FloatMode: 240
; IeeeMode: 1
; LDSByteSize: 480 bytes/workgroup (compile time only)
; SGPRBlocks: 0
; VGPRBlocks: 0
; NumSGPRsForWavesPerEU: 18
; NumVGPRsForWavesPerEU: 16
; NamedBarCnt: 0
; Occupancy: 16
; WaveLimiterHint : 1
; COMPUTE_PGM_RSRC2:SCRATCH_EN: 0
; COMPUTE_PGM_RSRC2:USER_SGPR: 2
; COMPUTE_PGM_RSRC2:TRAP_HANDLER: 0
; COMPUTE_PGM_RSRC2:TGID_X_EN: 1
; COMPUTE_PGM_RSRC2:TGID_Y_EN: 0
; COMPUTE_PGM_RSRC2:TGID_Z_EN: 0
; COMPUTE_PGM_RSRC2:TIDIG_COMP_CNT: 0
	.section	.text._ZN9rocsparseL22gebsrmvn_mxn_16_kernelILj45ELj15ELj3E21rocsparse_complex_numIfEEEvi20rocsparse_direction_NS_24const_host_device_scalarIT2_EEPKiS8_PKS5_iiSA_S6_PS5_21rocsparse_index_base_b,"axG",@progbits,_ZN9rocsparseL22gebsrmvn_mxn_16_kernelILj45ELj15ELj3E21rocsparse_complex_numIfEEEvi20rocsparse_direction_NS_24const_host_device_scalarIT2_EEPKiS8_PKS5_iiSA_S6_PS5_21rocsparse_index_base_b,comdat
	.globl	_ZN9rocsparseL22gebsrmvn_mxn_16_kernelILj45ELj15ELj3E21rocsparse_complex_numIfEEEvi20rocsparse_direction_NS_24const_host_device_scalarIT2_EEPKiS8_PKS5_iiSA_S6_PS5_21rocsparse_index_base_b ; -- Begin function _ZN9rocsparseL22gebsrmvn_mxn_16_kernelILj45ELj15ELj3E21rocsparse_complex_numIfEEEvi20rocsparse_direction_NS_24const_host_device_scalarIT2_EEPKiS8_PKS5_iiSA_S6_PS5_21rocsparse_index_base_b
	.p2align	8
	.type	_ZN9rocsparseL22gebsrmvn_mxn_16_kernelILj45ELj15ELj3E21rocsparse_complex_numIfEEEvi20rocsparse_direction_NS_24const_host_device_scalarIT2_EEPKiS8_PKS5_iiSA_S6_PS5_21rocsparse_index_base_b,@function
_ZN9rocsparseL22gebsrmvn_mxn_16_kernelILj45ELj15ELj3E21rocsparse_complex_numIfEEEvi20rocsparse_direction_NS_24const_host_device_scalarIT2_EEPKiS8_PKS5_iiSA_S6_PS5_21rocsparse_index_base_b: ; @_ZN9rocsparseL22gebsrmvn_mxn_16_kernelILj45ELj15ELj3E21rocsparse_complex_numIfEEEvi20rocsparse_direction_NS_24const_host_device_scalarIT2_EEPKiS8_PKS5_iiSA_S6_PS5_21rocsparse_index_base_b
; %bb.0:
	s_clause 0x2
	s_load_b64 s[10:11], s[0:1], 0x48
	s_load_b64 s[2:3], s[0:1], 0x8
	;; [unrolled: 1-line block ×3, first 2 shown]
	v_mov_b32_e32 v1, 0
	s_add_nc_u64 s[6:7], s[0:1], 8
	s_add_nc_u64 s[8:9], s[0:1], 56
	s_wait_kmcnt 0x0
	s_bitcmp1_b32 s11, 0
	s_cselect_b32 s3, s7, s3
	s_cselect_b32 s2, s6, s2
	;; [unrolled: 1-line block ×4, first 2 shown]
	s_clause 0x1
	flat_load_b64 v[2:3], v1, s[2:3]
	flat_load_b64 v[4:5], v1, s[4:5]
	s_wait_loadcnt_dscnt 0x101
	v_cmp_eq_f32_e32 vcc_lo, 0, v2
	v_cmp_eq_f32_e64 s2, 0, v3
	s_wait_loadcnt_dscnt 0x0
	v_cmp_eq_f32_e64 s3, 1.0, v4
	v_cmp_eq_f32_e64 s4, 0, v5
	s_and_b32 s2, vcc_lo, s2
	s_and_b32 s3, s3, s4
	s_delay_alu instid0(SALU_CYCLE_1) | instskip(NEXT) | instid1(SALU_CYCLE_1)
	s_and_b32 s2, s2, s3
	s_xor_b32 s2, s2, -1
	s_delay_alu instid0(SALU_CYCLE_1)
	s_and_saveexec_b32 s3, s2
	s_cbranch_execz .LBB88_30
; %bb.1:
	v_mul_u32_u24_e32 v1, 0x5556, v0
	s_clause 0x1
	s_load_b32 s4, s[0:1], 0x4
	s_load_b64 s[2:3], s[0:1], 0x10
	v_and_b32_e32 v6, 0xffff, v0
	v_lshrrev_b32_e32 v1, 16, v1
	s_delay_alu instid0(VALU_DEP_1) | instskip(NEXT) | instid1(VALU_DEP_1)
	v_mul_lo_u16 v1, v1, 3
	v_sub_nc_u16 v1, v0, v1
	s_delay_alu instid0(VALU_DEP_1) | instskip(SKIP_3) | instid1(SALU_CYCLE_1)
	v_and_b32_e32 v8, 0xffff, v1
	s_wait_kmcnt 0x0
	s_cmp_lg_u32 s4, 1
	s_cselect_b32 s11, -1, 0
	s_and_b32 vcc_lo, exec_lo, s11
	v_mov_b32_e32 v1, v8
	s_cbranch_vccnz .LBB88_3
; %bb.2:
	v_mul_u32_u24_e32 v1, 0x1112, v6
	s_delay_alu instid0(VALU_DEP_1) | instskip(NEXT) | instid1(VALU_DEP_1)
	v_lshrrev_b32_e32 v1, 16, v1
	v_mul_lo_u16 v7, 0x56, v1
	s_delay_alu instid0(VALU_DEP_1) | instskip(NEXT) | instid1(VALU_DEP_1)
	v_lshrrev_b16 v7, 8, v7
	v_mul_lo_u16 v7, v7, 3
	s_delay_alu instid0(VALU_DEP_1) | instskip(NEXT) | instid1(VALU_DEP_1)
	v_sub_nc_u16 v1, v1, v7
	v_and_b32_e32 v1, 0xff, v1
.LBB88_3:
	s_bfe_u32 s4, ttmp6, 0x4000c
	s_and_b32 s5, ttmp6, 15
	s_add_co_i32 s4, s4, 1
	s_getreg_b32 s6, hwreg(HW_REG_IB_STS2, 6, 4)
	s_mul_i32 s4, ttmp9, s4
	s_delay_alu instid0(SALU_CYCLE_1) | instskip(SKIP_2) | instid1(SALU_CYCLE_1)
	s_add_co_i32 s5, s5, s4
	s_cmp_eq_u32 s6, 0
	s_cselect_b32 s8, ttmp9, s5
	s_ashr_i32 s9, s8, 31
	s_delay_alu instid0(SALU_CYCLE_1) | instskip(NEXT) | instid1(SALU_CYCLE_1)
	s_lshl_b64 s[4:5], s[8:9], 2
	s_add_nc_u64 s[4:5], s[2:3], s[4:5]
	s_load_b64 s[14:15], s[4:5], 0x0
	s_load_b64 s[2:3], s[0:1], 0x40
	s_wait_kmcnt 0x0
	s_cmp_ge_i32 s14, s15
	s_cbranch_scc1 .LBB88_8
; %bb.4:
	s_clause 0x1
	s_load_b128 s[4:7], s[0:1], 0x18
	s_load_b64 s[12:13], s[0:1], 0x30
	v_mad_u32 v10, s14, 45, v0
	v_mul_u32_u24_e32 v9, 0x5b1, v6
	s_wait_xcnt 0x0
	s_mul_i32 s0, s10, 45
	v_mov_b64_e32 v[6:7], 0
	s_sub_co_i32 s1, s14, s10
	v_lshrrev_b32_e32 v9, 16, v9
	s_delay_alu instid0(VALU_DEP_4)
	v_subrev_nc_u32_e32 v10, s0, v10
	s_sub_co_i32 s0, s15, s10
	s_branch .LBB88_6
.LBB88_5:                               ;   in Loop: Header=BB88_6 Depth=1
	s_or_b32 exec_lo, exec_lo, s9
	v_add_nc_u32_e32 v10, 45, v10
	s_add_co_i32 s1, s1, 1
	s_delay_alu instid0(SALU_CYCLE_1)
	s_cmp_ge_i32 s1, s0
	s_cbranch_scc1 .LBB88_9
.LBB88_6:                               ; =>This Inner Loop Header: Depth=1
	s_delay_alu instid0(VALU_DEP_2) | instskip(SKIP_1) | instid1(VALU_DEP_1)
	v_add_nc_u32_e32 v11, s1, v9
	s_mov_b32 s9, exec_lo
	v_cmpx_gt_i32_e64 s0, v11
	s_cbranch_execz .LBB88_5
; %bb.7:                                ;   in Loop: Header=BB88_6 Depth=1
	s_wait_kmcnt 0x0
	global_load_b32 v11, v11, s[4:5] scale_offset
	s_wait_loadcnt 0x0
	v_subrev_nc_u32_e32 v11, s10, v11
	s_delay_alu instid0(VALU_DEP_1) | instskip(SKIP_4) | instid1(VALU_DEP_1)
	v_mad_u32 v11, v11, 3, v1
	global_load_b64 v[12:13], v11, s[12:13] scale_offset
	global_load_b64 v[14:15], v10, s[6:7] scale_offset
	s_wait_loadcnt 0x0
	v_pk_fma_f32 v[6:7], v[14:15], v[12:13], v[6:7] op_sel_hi:[1,0,1]
	v_pk_fma_f32 v[6:7], v[14:15], v[12:13], v[6:7] op_sel:[1,1,0] op_sel_hi:[0,1,1] neg_lo:[1,0,0]
	s_branch .LBB88_5
.LBB88_8:
	v_mov_b64_e32 v[6:7], 0
.LBB88_9:
	v_lshlrev_b32_e32 v1, 3, v0
	s_and_b32 vcc_lo, exec_lo, s11
	ds_store_b64 v1, v[6:7]
	s_wait_dscnt 0x0
	s_barrier_signal -1
	s_barrier_wait -1
	s_cbranch_vccz .LBB88_17
; %bb.10:
	v_cmp_eq_u16_e32 vcc_lo, 0, v8
	s_and_saveexec_b32 s0, vcc_lo
	s_cbranch_execz .LBB88_12
; %bb.11:
	ds_load_2addr_b64 v[8:11], v1 offset1:2
	s_wait_dscnt 0x0
	v_pk_add_f32 v[8:9], v[10:11], v[8:9]
	ds_store_b64 v1, v[8:9]
.LBB88_12:
	s_or_b32 exec_lo, exec_lo, s0
	s_wait_dscnt 0x0
	s_barrier_signal -1
	s_barrier_wait -1
	s_and_saveexec_b32 s0, vcc_lo
	s_cbranch_execz .LBB88_14
; %bb.13:
	ds_load_2addr_b64 v[8:11], v1 offset1:1
	s_wait_dscnt 0x0
	v_pk_add_f32 v[8:9], v[10:11], v[8:9]
	ds_store_b64 v1, v[8:9]
.LBB88_14:
	s_or_b32 exec_lo, exec_lo, s0
	v_mov_b64_e32 v[8:9], v[6:7]
	s_mov_b32 s0, exec_lo
	s_wait_dscnt 0x0
	s_barrier_signal -1
	s_barrier_wait -1
	v_cmpx_gt_u32_e32 15, v0
; %bb.15:
	v_lshl_add_u32 v8, v0, 4, v1
	ds_load_b64 v[8:9], v8
; %bb.16:
	s_or_b32 exec_lo, exec_lo, s0
	v_cmp_gt_u32_e64 s0, 15, v0
	s_branch .LBB88_25
.LBB88_17:
                                        ; implicit-def: $vgpr8_vgpr9
	v_cmp_gt_u32_e64 s0, 15, v0
	s_cbranch_execz .LBB88_25
; %bb.18:
	v_cmp_lt_u32_e32 vcc_lo, 14, v0
	s_and_saveexec_b32 s1, s0
	s_cbranch_execz .LBB88_20
; %bb.19:
	s_wait_dscnt 0x0
	ds_load_2addr_b64 v[8:11], v1 offset1:30
	s_wait_dscnt 0x0
	v_pk_add_f32 v[8:9], v[10:11], v[8:9]
	ds_store_b64 v1, v[8:9]
.LBB88_20:
	s_or_b32 exec_lo, exec_lo, s1
	s_wait_dscnt 0x0
	s_barrier_signal -1
	s_barrier_wait -1
	s_and_saveexec_b32 s0, vcc_lo
	s_delay_alu instid0(SALU_CYCLE_1)
	s_xor_b32 s0, exec_lo, s0
; %bb.21:
                                        ; implicit-def: $vgpr1
; %bb.22:
	s_delay_alu instid0(SALU_CYCLE_1)
	s_and_not1_saveexec_b32 s0, s0
	s_cbranch_execz .LBB88_24
; %bb.23:
	ds_load_2addr_b64 v[6:9], v1 offset1:15
	s_wait_dscnt 0x0
	v_pk_add_f32 v[6:7], v[8:9], v[6:7]
	ds_store_b64 v1, v[6:7]
	s_wait_dscnt 0x0
	ds_load_b64 v[6:7], v1
.LBB88_24:
	s_or_b32 exec_lo, exec_lo, s0
	s_wait_dscnt 0x0
	v_mov_b64_e32 v[8:9], v[6:7]
.LBB88_25:
	v_cmp_gt_u32_e32 vcc_lo, 15, v0
	s_and_b32 exec_lo, exec_lo, vcc_lo
	s_cbranch_execz .LBB88_30
; %bb.26:
	v_mad_u32 v6, s8, 15, v0
	v_cmp_eq_f32_e32 vcc_lo, 0, v4
	v_cmp_eq_f32_e64 s0, 0, v5
	v_xor_b32_e32 v0, 0x80000000, v3
	s_and_b32 s0, vcc_lo, s0
	s_delay_alu instid0(SALU_CYCLE_1) | instskip(NEXT) | instid1(SALU_CYCLE_1)
	s_and_saveexec_b32 s1, s0
	s_xor_b32 s0, exec_lo, s1
	s_cbranch_execz .LBB88_28
; %bb.27:
	v_mov_b32_e32 v1, v2
                                        ; implicit-def: $vgpr4_vgpr5
	s_wait_dscnt 0x0
	s_delay_alu instid0(VALU_DEP_1) | instskip(NEXT) | instid1(VALU_DEP_1)
	v_pk_mul_f32 v[0:1], v[8:9], v[0:1] op_sel:[1,0]
	v_pk_fma_f32 v[0:1], v[2:3], v[8:9], v[0:1] op_sel_hi:[1,0,1]
                                        ; implicit-def: $vgpr2_vgpr3
                                        ; implicit-def: $vgpr8_vgpr9
	global_store_b64 v6, v[0:1], s[2:3] scale_offset
                                        ; implicit-def: $vgpr6
                                        ; implicit-def: $vgpr0
.LBB88_28:
	s_wait_xcnt 0x0
	s_and_not1_saveexec_b32 s0, s0
	s_cbranch_execz .LBB88_30
; %bb.29:
	global_load_b64 v[10:11], v6, s[2:3] scale_offset
	v_mov_b32_e32 v1, v2
	s_wait_dscnt 0x0
	s_delay_alu instid0(VALU_DEP_1) | instskip(NEXT) | instid1(VALU_DEP_1)
	v_pk_mul_f32 v[0:1], v[8:9], v[0:1] op_sel:[1,0]
	v_pk_fma_f32 v[0:1], v[2:3], v[8:9], v[0:1] op_sel_hi:[1,0,1]
	v_xor_b32_e32 v2, 0x80000000, v5
	v_mov_b32_e32 v3, v4
	s_wait_loadcnt 0x0
	s_delay_alu instid0(VALU_DEP_3) | instskip(NEXT) | instid1(VALU_DEP_1)
	v_pk_fma_f32 v[0:1], v[4:5], v[10:11], v[0:1] op_sel_hi:[1,0,1]
	v_pk_fma_f32 v[0:1], v[2:3], v[10:11], v[0:1] op_sel:[0,1,0]
	global_store_b64 v6, v[0:1], s[2:3] scale_offset
.LBB88_30:
	s_endpgm
	.section	.rodata,"a",@progbits
	.p2align	6, 0x0
	.amdhsa_kernel _ZN9rocsparseL22gebsrmvn_mxn_16_kernelILj45ELj15ELj3E21rocsparse_complex_numIfEEEvi20rocsparse_direction_NS_24const_host_device_scalarIT2_EEPKiS8_PKS5_iiSA_S6_PS5_21rocsparse_index_base_b
		.amdhsa_group_segment_fixed_size 360
		.amdhsa_private_segment_fixed_size 0
		.amdhsa_kernarg_size 80
		.amdhsa_user_sgpr_count 2
		.amdhsa_user_sgpr_dispatch_ptr 0
		.amdhsa_user_sgpr_queue_ptr 0
		.amdhsa_user_sgpr_kernarg_segment_ptr 1
		.amdhsa_user_sgpr_dispatch_id 0
		.amdhsa_user_sgpr_kernarg_preload_length 0
		.amdhsa_user_sgpr_kernarg_preload_offset 0
		.amdhsa_user_sgpr_private_segment_size 0
		.amdhsa_wavefront_size32 1
		.amdhsa_uses_dynamic_stack 0
		.amdhsa_enable_private_segment 0
		.amdhsa_system_sgpr_workgroup_id_x 1
		.amdhsa_system_sgpr_workgroup_id_y 0
		.amdhsa_system_sgpr_workgroup_id_z 0
		.amdhsa_system_sgpr_workgroup_info 0
		.amdhsa_system_vgpr_workitem_id 0
		.amdhsa_next_free_vgpr 16
		.amdhsa_next_free_sgpr 16
		.amdhsa_named_barrier_count 0
		.amdhsa_reserve_vcc 1
		.amdhsa_float_round_mode_32 0
		.amdhsa_float_round_mode_16_64 0
		.amdhsa_float_denorm_mode_32 3
		.amdhsa_float_denorm_mode_16_64 3
		.amdhsa_fp16_overflow 0
		.amdhsa_memory_ordered 1
		.amdhsa_forward_progress 1
		.amdhsa_inst_pref_size 9
		.amdhsa_round_robin_scheduling 0
		.amdhsa_exception_fp_ieee_invalid_op 0
		.amdhsa_exception_fp_denorm_src 0
		.amdhsa_exception_fp_ieee_div_zero 0
		.amdhsa_exception_fp_ieee_overflow 0
		.amdhsa_exception_fp_ieee_underflow 0
		.amdhsa_exception_fp_ieee_inexact 0
		.amdhsa_exception_int_div_zero 0
	.end_amdhsa_kernel
	.section	.text._ZN9rocsparseL22gebsrmvn_mxn_16_kernelILj45ELj15ELj3E21rocsparse_complex_numIfEEEvi20rocsparse_direction_NS_24const_host_device_scalarIT2_EEPKiS8_PKS5_iiSA_S6_PS5_21rocsparse_index_base_b,"axG",@progbits,_ZN9rocsparseL22gebsrmvn_mxn_16_kernelILj45ELj15ELj3E21rocsparse_complex_numIfEEEvi20rocsparse_direction_NS_24const_host_device_scalarIT2_EEPKiS8_PKS5_iiSA_S6_PS5_21rocsparse_index_base_b,comdat
.Lfunc_end88:
	.size	_ZN9rocsparseL22gebsrmvn_mxn_16_kernelILj45ELj15ELj3E21rocsparse_complex_numIfEEEvi20rocsparse_direction_NS_24const_host_device_scalarIT2_EEPKiS8_PKS5_iiSA_S6_PS5_21rocsparse_index_base_b, .Lfunc_end88-_ZN9rocsparseL22gebsrmvn_mxn_16_kernelILj45ELj15ELj3E21rocsparse_complex_numIfEEEvi20rocsparse_direction_NS_24const_host_device_scalarIT2_EEPKiS8_PKS5_iiSA_S6_PS5_21rocsparse_index_base_b
                                        ; -- End function
	.set _ZN9rocsparseL22gebsrmvn_mxn_16_kernelILj45ELj15ELj3E21rocsparse_complex_numIfEEEvi20rocsparse_direction_NS_24const_host_device_scalarIT2_EEPKiS8_PKS5_iiSA_S6_PS5_21rocsparse_index_base_b.num_vgpr, 16
	.set _ZN9rocsparseL22gebsrmvn_mxn_16_kernelILj45ELj15ELj3E21rocsparse_complex_numIfEEEvi20rocsparse_direction_NS_24const_host_device_scalarIT2_EEPKiS8_PKS5_iiSA_S6_PS5_21rocsparse_index_base_b.num_agpr, 0
	.set _ZN9rocsparseL22gebsrmvn_mxn_16_kernelILj45ELj15ELj3E21rocsparse_complex_numIfEEEvi20rocsparse_direction_NS_24const_host_device_scalarIT2_EEPKiS8_PKS5_iiSA_S6_PS5_21rocsparse_index_base_b.numbered_sgpr, 16
	.set _ZN9rocsparseL22gebsrmvn_mxn_16_kernelILj45ELj15ELj3E21rocsparse_complex_numIfEEEvi20rocsparse_direction_NS_24const_host_device_scalarIT2_EEPKiS8_PKS5_iiSA_S6_PS5_21rocsparse_index_base_b.num_named_barrier, 0
	.set _ZN9rocsparseL22gebsrmvn_mxn_16_kernelILj45ELj15ELj3E21rocsparse_complex_numIfEEEvi20rocsparse_direction_NS_24const_host_device_scalarIT2_EEPKiS8_PKS5_iiSA_S6_PS5_21rocsparse_index_base_b.private_seg_size, 0
	.set _ZN9rocsparseL22gebsrmvn_mxn_16_kernelILj45ELj15ELj3E21rocsparse_complex_numIfEEEvi20rocsparse_direction_NS_24const_host_device_scalarIT2_EEPKiS8_PKS5_iiSA_S6_PS5_21rocsparse_index_base_b.uses_vcc, 1
	.set _ZN9rocsparseL22gebsrmvn_mxn_16_kernelILj45ELj15ELj3E21rocsparse_complex_numIfEEEvi20rocsparse_direction_NS_24const_host_device_scalarIT2_EEPKiS8_PKS5_iiSA_S6_PS5_21rocsparse_index_base_b.uses_flat_scratch, 1
	.set _ZN9rocsparseL22gebsrmvn_mxn_16_kernelILj45ELj15ELj3E21rocsparse_complex_numIfEEEvi20rocsparse_direction_NS_24const_host_device_scalarIT2_EEPKiS8_PKS5_iiSA_S6_PS5_21rocsparse_index_base_b.has_dyn_sized_stack, 0
	.set _ZN9rocsparseL22gebsrmvn_mxn_16_kernelILj45ELj15ELj3E21rocsparse_complex_numIfEEEvi20rocsparse_direction_NS_24const_host_device_scalarIT2_EEPKiS8_PKS5_iiSA_S6_PS5_21rocsparse_index_base_b.has_recursion, 0
	.set _ZN9rocsparseL22gebsrmvn_mxn_16_kernelILj45ELj15ELj3E21rocsparse_complex_numIfEEEvi20rocsparse_direction_NS_24const_host_device_scalarIT2_EEPKiS8_PKS5_iiSA_S6_PS5_21rocsparse_index_base_b.has_indirect_call, 0
	.section	.AMDGPU.csdata,"",@progbits
; Kernel info:
; codeLenInByte = 1152
; TotalNumSgprs: 18
; NumVgprs: 16
; ScratchSize: 0
; MemoryBound: 0
; FloatMode: 240
; IeeeMode: 1
; LDSByteSize: 360 bytes/workgroup (compile time only)
; SGPRBlocks: 0
; VGPRBlocks: 0
; NumSGPRsForWavesPerEU: 18
; NumVGPRsForWavesPerEU: 16
; NamedBarCnt: 0
; Occupancy: 16
; WaveLimiterHint : 1
; COMPUTE_PGM_RSRC2:SCRATCH_EN: 0
; COMPUTE_PGM_RSRC2:USER_SGPR: 2
; COMPUTE_PGM_RSRC2:TRAP_HANDLER: 0
; COMPUTE_PGM_RSRC2:TGID_X_EN: 1
; COMPUTE_PGM_RSRC2:TGID_Y_EN: 0
; COMPUTE_PGM_RSRC2:TGID_Z_EN: 0
; COMPUTE_PGM_RSRC2:TIDIG_COMP_CNT: 0
	.section	.text._ZN9rocsparseL22gebsrmvn_mxn_16_kernelILj60ELj15ELj4E21rocsparse_complex_numIfEEEvi20rocsparse_direction_NS_24const_host_device_scalarIT2_EEPKiS8_PKS5_iiSA_S6_PS5_21rocsparse_index_base_b,"axG",@progbits,_ZN9rocsparseL22gebsrmvn_mxn_16_kernelILj60ELj15ELj4E21rocsparse_complex_numIfEEEvi20rocsparse_direction_NS_24const_host_device_scalarIT2_EEPKiS8_PKS5_iiSA_S6_PS5_21rocsparse_index_base_b,comdat
	.globl	_ZN9rocsparseL22gebsrmvn_mxn_16_kernelILj60ELj15ELj4E21rocsparse_complex_numIfEEEvi20rocsparse_direction_NS_24const_host_device_scalarIT2_EEPKiS8_PKS5_iiSA_S6_PS5_21rocsparse_index_base_b ; -- Begin function _ZN9rocsparseL22gebsrmvn_mxn_16_kernelILj60ELj15ELj4E21rocsparse_complex_numIfEEEvi20rocsparse_direction_NS_24const_host_device_scalarIT2_EEPKiS8_PKS5_iiSA_S6_PS5_21rocsparse_index_base_b
	.p2align	8
	.type	_ZN9rocsparseL22gebsrmvn_mxn_16_kernelILj60ELj15ELj4E21rocsparse_complex_numIfEEEvi20rocsparse_direction_NS_24const_host_device_scalarIT2_EEPKiS8_PKS5_iiSA_S6_PS5_21rocsparse_index_base_b,@function
_ZN9rocsparseL22gebsrmvn_mxn_16_kernelILj60ELj15ELj4E21rocsparse_complex_numIfEEEvi20rocsparse_direction_NS_24const_host_device_scalarIT2_EEPKiS8_PKS5_iiSA_S6_PS5_21rocsparse_index_base_b: ; @_ZN9rocsparseL22gebsrmvn_mxn_16_kernelILj60ELj15ELj4E21rocsparse_complex_numIfEEEvi20rocsparse_direction_NS_24const_host_device_scalarIT2_EEPKiS8_PKS5_iiSA_S6_PS5_21rocsparse_index_base_b
; %bb.0:
	s_clause 0x2
	s_load_b64 s[10:11], s[0:1], 0x48
	s_load_b64 s[2:3], s[0:1], 0x8
	;; [unrolled: 1-line block ×3, first 2 shown]
	v_mov_b32_e32 v1, 0
	s_add_nc_u64 s[6:7], s[0:1], 8
	s_add_nc_u64 s[8:9], s[0:1], 56
	s_wait_kmcnt 0x0
	s_bitcmp1_b32 s11, 0
	s_cselect_b32 s3, s7, s3
	s_cselect_b32 s2, s6, s2
	;; [unrolled: 1-line block ×4, first 2 shown]
	s_clause 0x1
	flat_load_b64 v[2:3], v1, s[2:3]
	flat_load_b64 v[4:5], v1, s[4:5]
	s_wait_loadcnt_dscnt 0x101
	v_cmp_eq_f32_e32 vcc_lo, 0, v2
	v_cmp_eq_f32_e64 s2, 0, v3
	s_wait_loadcnt_dscnt 0x0
	v_cmp_eq_f32_e64 s3, 1.0, v4
	v_cmp_eq_f32_e64 s4, 0, v5
	s_and_b32 s2, vcc_lo, s2
	s_and_b32 s3, s3, s4
	s_delay_alu instid0(SALU_CYCLE_1) | instskip(NEXT) | instid1(SALU_CYCLE_1)
	s_and_b32 s2, s2, s3
	s_xor_b32 s2, s2, -1
	s_delay_alu instid0(SALU_CYCLE_1)
	s_and_saveexec_b32 s3, s2
	s_cbranch_execz .LBB89_30
; %bb.1:
	s_clause 0x1
	s_load_b32 s4, s[0:1], 0x4
	s_load_b64 s[2:3], s[0:1], 0x10
	v_and_b32_e32 v1, 3, v0
	s_delay_alu instid0(VALU_DEP_1) | instskip(SKIP_3) | instid1(SALU_CYCLE_1)
	v_mov_b32_e32 v8, v1
	s_wait_kmcnt 0x0
	s_cmp_lg_u32 s4, 1
	s_cselect_b32 s11, -1, 0
	s_and_b32 vcc_lo, exec_lo, s11
	s_cbranch_vccnz .LBB89_3
; %bb.2:
	v_mul_u32_u24_e32 v6, 0x1112, v0
	s_delay_alu instid0(VALU_DEP_1)
	v_bfe_u32 v8, v6, 16, 2
.LBB89_3:
	s_bfe_u32 s4, ttmp6, 0x4000c
	s_and_b32 s5, ttmp6, 15
	s_add_co_i32 s4, s4, 1
	s_getreg_b32 s6, hwreg(HW_REG_IB_STS2, 6, 4)
	s_mul_i32 s4, ttmp9, s4
	s_delay_alu instid0(SALU_CYCLE_1) | instskip(SKIP_2) | instid1(SALU_CYCLE_1)
	s_add_co_i32 s5, s5, s4
	s_cmp_eq_u32 s6, 0
	s_cselect_b32 s8, ttmp9, s5
	s_ashr_i32 s9, s8, 31
	s_delay_alu instid0(SALU_CYCLE_1) | instskip(NEXT) | instid1(SALU_CYCLE_1)
	s_lshl_b64 s[4:5], s[8:9], 2
	s_add_nc_u64 s[4:5], s[2:3], s[4:5]
	s_load_b64 s[14:15], s[4:5], 0x0
	s_load_b64 s[2:3], s[0:1], 0x40
	s_wait_kmcnt 0x0
	s_cmp_ge_i32 s14, s15
	s_cbranch_scc1 .LBB89_8
; %bb.4:
	s_clause 0x1
	s_load_b128 s[4:7], s[0:1], 0x18
	s_load_b64 s[12:13], s[0:1], 0x30
	v_mad_u32 v10, s14, 60, v0
	v_mul_u32_u24_e32 v9, 0x445, v0
	s_wait_xcnt 0x0
	s_mul_i32 s0, s10, 60
	v_mov_b64_e32 v[6:7], 0
	s_sub_co_i32 s1, s14, s10
	v_lshrrev_b32_e32 v9, 16, v9
	s_delay_alu instid0(VALU_DEP_4)
	v_subrev_nc_u32_e32 v10, s0, v10
	s_sub_co_i32 s0, s15, s10
	s_branch .LBB89_6
.LBB89_5:                               ;   in Loop: Header=BB89_6 Depth=1
	s_or_b32 exec_lo, exec_lo, s9
	v_add_nc_u32_e32 v10, 60, v10
	s_add_co_i32 s1, s1, 1
	s_delay_alu instid0(SALU_CYCLE_1)
	s_cmp_ge_i32 s1, s0
	s_cbranch_scc1 .LBB89_9
.LBB89_6:                               ; =>This Inner Loop Header: Depth=1
	s_delay_alu instid0(VALU_DEP_2) | instskip(SKIP_1) | instid1(VALU_DEP_1)
	v_add_nc_u32_e32 v11, s1, v9
	s_mov_b32 s9, exec_lo
	v_cmpx_gt_i32_e64 s0, v11
	s_cbranch_execz .LBB89_5
; %bb.7:                                ;   in Loop: Header=BB89_6 Depth=1
	s_wait_kmcnt 0x0
	global_load_b32 v11, v11, s[4:5] scale_offset
	s_wait_loadcnt 0x0
	v_subrev_nc_u32_e32 v11, s10, v11
	s_delay_alu instid0(VALU_DEP_1) | instskip(SKIP_4) | instid1(VALU_DEP_1)
	v_lshl_or_b32 v11, v11, 2, v8
	global_load_b64 v[12:13], v11, s[12:13] scale_offset
	global_load_b64 v[14:15], v10, s[6:7] scale_offset
	s_wait_loadcnt 0x0
	v_pk_fma_f32 v[6:7], v[14:15], v[12:13], v[6:7] op_sel_hi:[1,0,1]
	v_pk_fma_f32 v[6:7], v[14:15], v[12:13], v[6:7] op_sel:[1,1,0] op_sel_hi:[0,1,1] neg_lo:[1,0,0]
	s_branch .LBB89_5
.LBB89_8:
	v_mov_b64_e32 v[6:7], 0
.LBB89_9:
	v_lshlrev_b32_e32 v10, 3, v0
	s_and_b32 vcc_lo, exec_lo, s11
	ds_store_b64 v10, v[6:7]
	s_wait_dscnt 0x0
	s_barrier_signal -1
	s_barrier_wait -1
	s_cbranch_vccz .LBB89_17
; %bb.10:
	s_mov_b32 s0, exec_lo
	v_cmpx_gt_u32_e32 2, v1
	s_cbranch_execz .LBB89_12
; %bb.11:
	ds_load_2addr_b64 v[12:15], v10 offset1:2
	s_wait_dscnt 0x0
	v_pk_add_f32 v[8:9], v[14:15], v[12:13]
	ds_store_b64 v10, v[8:9]
.LBB89_12:
	s_or_b32 exec_lo, exec_lo, s0
	s_delay_alu instid0(SALU_CYCLE_1)
	s_mov_b32 s0, exec_lo
	s_wait_dscnt 0x0
	s_barrier_signal -1
	s_barrier_wait -1
	v_cmpx_eq_u32_e32 0, v1
	s_cbranch_execz .LBB89_14
; %bb.13:
	ds_load_2addr_b64 v[12:15], v10 offset1:1
	s_wait_dscnt 0x0
	v_pk_add_f32 v[8:9], v[14:15], v[12:13]
	ds_store_b64 v10, v[8:9]
.LBB89_14:
	s_or_b32 exec_lo, exec_lo, s0
	v_mov_b64_e32 v[8:9], v[6:7]
	s_mov_b32 s0, exec_lo
	s_wait_dscnt 0x0
	s_barrier_signal -1
	s_barrier_wait -1
	v_cmpx_gt_u32_e32 15, v0
; %bb.15:
	v_mad_u32_u24 v1, v0, 24, v10
	ds_load_b64 v[8:9], v1
; %bb.16:
	s_or_b32 exec_lo, exec_lo, s0
	s_branch .LBB89_25
.LBB89_17:
                                        ; implicit-def: $vgpr8_vgpr9
	s_cbranch_execz .LBB89_25
; %bb.18:
	s_mov_b32 s0, exec_lo
	v_cmpx_gt_u32_e32 30, v0
	s_cbranch_execz .LBB89_20
; %bb.19:
	ds_load_2addr_b64 v[12:15], v10 offset1:30
	s_wait_dscnt 0x0
	v_pk_add_f32 v[8:9], v[14:15], v[12:13]
	ds_store_b64 v10, v[8:9]
.LBB89_20:
	s_or_b32 exec_lo, exec_lo, s0
	s_delay_alu instid0(SALU_CYCLE_1)
	s_mov_b32 s0, exec_lo
	s_wait_dscnt 0x0
	v_cmpx_lt_u32_e32 14, v0
	s_xor_b32 s0, exec_lo, s0
; %bb.21:
                                        ; implicit-def: $vgpr10
; %bb.22:
	s_delay_alu instid0(SALU_CYCLE_1)
	s_and_not1_saveexec_b32 s0, s0
	s_cbranch_execz .LBB89_24
; %bb.23:
	ds_load_2addr_b64 v[6:9], v10 offset1:15
	s_wait_dscnt 0x0
	v_pk_add_f32 v[6:7], v[8:9], v[6:7]
	ds_store_b64 v10, v[6:7]
	s_wait_dscnt 0x0
	ds_load_b64 v[6:7], v10
.LBB89_24:
	s_or_b32 exec_lo, exec_lo, s0
	s_wait_dscnt 0x0
	v_mov_b64_e32 v[8:9], v[6:7]
.LBB89_25:
	v_cmp_gt_u32_e32 vcc_lo, 15, v0
	s_and_b32 exec_lo, exec_lo, vcc_lo
	s_cbranch_execz .LBB89_30
; %bb.26:
	v_mad_u32 v6, s8, 15, v0
	v_cmp_eq_f32_e32 vcc_lo, 0, v4
	v_cmp_eq_f32_e64 s0, 0, v5
	v_xor_b32_e32 v0, 0x80000000, v3
	s_and_b32 s0, vcc_lo, s0
	s_delay_alu instid0(SALU_CYCLE_1) | instskip(NEXT) | instid1(SALU_CYCLE_1)
	s_and_saveexec_b32 s1, s0
	s_xor_b32 s0, exec_lo, s1
	s_cbranch_execz .LBB89_28
; %bb.27:
	v_mov_b32_e32 v1, v2
                                        ; implicit-def: $vgpr4_vgpr5
	s_wait_dscnt 0x0
	s_delay_alu instid0(VALU_DEP_1) | instskip(NEXT) | instid1(VALU_DEP_1)
	v_pk_mul_f32 v[0:1], v[8:9], v[0:1] op_sel:[1,0]
	v_pk_fma_f32 v[0:1], v[2:3], v[8:9], v[0:1] op_sel_hi:[1,0,1]
                                        ; implicit-def: $vgpr2_vgpr3
                                        ; implicit-def: $vgpr8_vgpr9
	global_store_b64 v6, v[0:1], s[2:3] scale_offset
                                        ; implicit-def: $vgpr6
                                        ; implicit-def: $vgpr0
.LBB89_28:
	s_wait_xcnt 0x0
	s_and_not1_saveexec_b32 s0, s0
	s_cbranch_execz .LBB89_30
; %bb.29:
	global_load_b64 v[10:11], v6, s[2:3] scale_offset
	v_mov_b32_e32 v1, v2
	s_wait_dscnt 0x0
	s_delay_alu instid0(VALU_DEP_1) | instskip(NEXT) | instid1(VALU_DEP_1)
	v_pk_mul_f32 v[0:1], v[8:9], v[0:1] op_sel:[1,0]
	v_pk_fma_f32 v[0:1], v[2:3], v[8:9], v[0:1] op_sel_hi:[1,0,1]
	v_xor_b32_e32 v2, 0x80000000, v5
	v_mov_b32_e32 v3, v4
	s_wait_loadcnt 0x0
	s_delay_alu instid0(VALU_DEP_3) | instskip(NEXT) | instid1(VALU_DEP_1)
	v_pk_fma_f32 v[0:1], v[4:5], v[10:11], v[0:1] op_sel_hi:[1,0,1]
	v_pk_fma_f32 v[0:1], v[2:3], v[10:11], v[0:1] op_sel:[0,1,0]
	global_store_b64 v6, v[0:1], s[2:3] scale_offset
.LBB89_30:
	s_endpgm
	.section	.rodata,"a",@progbits
	.p2align	6, 0x0
	.amdhsa_kernel _ZN9rocsparseL22gebsrmvn_mxn_16_kernelILj60ELj15ELj4E21rocsparse_complex_numIfEEEvi20rocsparse_direction_NS_24const_host_device_scalarIT2_EEPKiS8_PKS5_iiSA_S6_PS5_21rocsparse_index_base_b
		.amdhsa_group_segment_fixed_size 480
		.amdhsa_private_segment_fixed_size 0
		.amdhsa_kernarg_size 80
		.amdhsa_user_sgpr_count 2
		.amdhsa_user_sgpr_dispatch_ptr 0
		.amdhsa_user_sgpr_queue_ptr 0
		.amdhsa_user_sgpr_kernarg_segment_ptr 1
		.amdhsa_user_sgpr_dispatch_id 0
		.amdhsa_user_sgpr_kernarg_preload_length 0
		.amdhsa_user_sgpr_kernarg_preload_offset 0
		.amdhsa_user_sgpr_private_segment_size 0
		.amdhsa_wavefront_size32 1
		.amdhsa_uses_dynamic_stack 0
		.amdhsa_enable_private_segment 0
		.amdhsa_system_sgpr_workgroup_id_x 1
		.amdhsa_system_sgpr_workgroup_id_y 0
		.amdhsa_system_sgpr_workgroup_id_z 0
		.amdhsa_system_sgpr_workgroup_info 0
		.amdhsa_system_vgpr_workitem_id 0
		.amdhsa_next_free_vgpr 16
		.amdhsa_next_free_sgpr 16
		.amdhsa_named_barrier_count 0
		.amdhsa_reserve_vcc 1
		.amdhsa_float_round_mode_32 0
		.amdhsa_float_round_mode_16_64 0
		.amdhsa_float_denorm_mode_32 3
		.amdhsa_float_denorm_mode_16_64 3
		.amdhsa_fp16_overflow 0
		.amdhsa_memory_ordered 1
		.amdhsa_forward_progress 1
		.amdhsa_inst_pref_size 9
		.amdhsa_round_robin_scheduling 0
		.amdhsa_exception_fp_ieee_invalid_op 0
		.amdhsa_exception_fp_denorm_src 0
		.amdhsa_exception_fp_ieee_div_zero 0
		.amdhsa_exception_fp_ieee_overflow 0
		.amdhsa_exception_fp_ieee_underflow 0
		.amdhsa_exception_fp_ieee_inexact 0
		.amdhsa_exception_int_div_zero 0
	.end_amdhsa_kernel
	.section	.text._ZN9rocsparseL22gebsrmvn_mxn_16_kernelILj60ELj15ELj4E21rocsparse_complex_numIfEEEvi20rocsparse_direction_NS_24const_host_device_scalarIT2_EEPKiS8_PKS5_iiSA_S6_PS5_21rocsparse_index_base_b,"axG",@progbits,_ZN9rocsparseL22gebsrmvn_mxn_16_kernelILj60ELj15ELj4E21rocsparse_complex_numIfEEEvi20rocsparse_direction_NS_24const_host_device_scalarIT2_EEPKiS8_PKS5_iiSA_S6_PS5_21rocsparse_index_base_b,comdat
.Lfunc_end89:
	.size	_ZN9rocsparseL22gebsrmvn_mxn_16_kernelILj60ELj15ELj4E21rocsparse_complex_numIfEEEvi20rocsparse_direction_NS_24const_host_device_scalarIT2_EEPKiS8_PKS5_iiSA_S6_PS5_21rocsparse_index_base_b, .Lfunc_end89-_ZN9rocsparseL22gebsrmvn_mxn_16_kernelILj60ELj15ELj4E21rocsparse_complex_numIfEEEvi20rocsparse_direction_NS_24const_host_device_scalarIT2_EEPKiS8_PKS5_iiSA_S6_PS5_21rocsparse_index_base_b
                                        ; -- End function
	.set _ZN9rocsparseL22gebsrmvn_mxn_16_kernelILj60ELj15ELj4E21rocsparse_complex_numIfEEEvi20rocsparse_direction_NS_24const_host_device_scalarIT2_EEPKiS8_PKS5_iiSA_S6_PS5_21rocsparse_index_base_b.num_vgpr, 16
	.set _ZN9rocsparseL22gebsrmvn_mxn_16_kernelILj60ELj15ELj4E21rocsparse_complex_numIfEEEvi20rocsparse_direction_NS_24const_host_device_scalarIT2_EEPKiS8_PKS5_iiSA_S6_PS5_21rocsparse_index_base_b.num_agpr, 0
	.set _ZN9rocsparseL22gebsrmvn_mxn_16_kernelILj60ELj15ELj4E21rocsparse_complex_numIfEEEvi20rocsparse_direction_NS_24const_host_device_scalarIT2_EEPKiS8_PKS5_iiSA_S6_PS5_21rocsparse_index_base_b.numbered_sgpr, 16
	.set _ZN9rocsparseL22gebsrmvn_mxn_16_kernelILj60ELj15ELj4E21rocsparse_complex_numIfEEEvi20rocsparse_direction_NS_24const_host_device_scalarIT2_EEPKiS8_PKS5_iiSA_S6_PS5_21rocsparse_index_base_b.num_named_barrier, 0
	.set _ZN9rocsparseL22gebsrmvn_mxn_16_kernelILj60ELj15ELj4E21rocsparse_complex_numIfEEEvi20rocsparse_direction_NS_24const_host_device_scalarIT2_EEPKiS8_PKS5_iiSA_S6_PS5_21rocsparse_index_base_b.private_seg_size, 0
	.set _ZN9rocsparseL22gebsrmvn_mxn_16_kernelILj60ELj15ELj4E21rocsparse_complex_numIfEEEvi20rocsparse_direction_NS_24const_host_device_scalarIT2_EEPKiS8_PKS5_iiSA_S6_PS5_21rocsparse_index_base_b.uses_vcc, 1
	.set _ZN9rocsparseL22gebsrmvn_mxn_16_kernelILj60ELj15ELj4E21rocsparse_complex_numIfEEEvi20rocsparse_direction_NS_24const_host_device_scalarIT2_EEPKiS8_PKS5_iiSA_S6_PS5_21rocsparse_index_base_b.uses_flat_scratch, 1
	.set _ZN9rocsparseL22gebsrmvn_mxn_16_kernelILj60ELj15ELj4E21rocsparse_complex_numIfEEEvi20rocsparse_direction_NS_24const_host_device_scalarIT2_EEPKiS8_PKS5_iiSA_S6_PS5_21rocsparse_index_base_b.has_dyn_sized_stack, 0
	.set _ZN9rocsparseL22gebsrmvn_mxn_16_kernelILj60ELj15ELj4E21rocsparse_complex_numIfEEEvi20rocsparse_direction_NS_24const_host_device_scalarIT2_EEPKiS8_PKS5_iiSA_S6_PS5_21rocsparse_index_base_b.has_recursion, 0
	.set _ZN9rocsparseL22gebsrmvn_mxn_16_kernelILj60ELj15ELj4E21rocsparse_complex_numIfEEEvi20rocsparse_direction_NS_24const_host_device_scalarIT2_EEPKiS8_PKS5_iiSA_S6_PS5_21rocsparse_index_base_b.has_indirect_call, 0
	.section	.AMDGPU.csdata,"",@progbits
; Kernel info:
; codeLenInByte = 1044
; TotalNumSgprs: 18
; NumVgprs: 16
; ScratchSize: 0
; MemoryBound: 0
; FloatMode: 240
; IeeeMode: 1
; LDSByteSize: 480 bytes/workgroup (compile time only)
; SGPRBlocks: 0
; VGPRBlocks: 0
; NumSGPRsForWavesPerEU: 18
; NumVGPRsForWavesPerEU: 16
; NamedBarCnt: 0
; Occupancy: 16
; WaveLimiterHint : 1
; COMPUTE_PGM_RSRC2:SCRATCH_EN: 0
; COMPUTE_PGM_RSRC2:USER_SGPR: 2
; COMPUTE_PGM_RSRC2:TRAP_HANDLER: 0
; COMPUTE_PGM_RSRC2:TGID_X_EN: 1
; COMPUTE_PGM_RSRC2:TGID_Y_EN: 0
; COMPUTE_PGM_RSRC2:TGID_Z_EN: 0
; COMPUTE_PGM_RSRC2:TIDIG_COMP_CNT: 0
	.section	.text._ZN9rocsparseL22gebsrmvn_mxn_16_kernelILj75ELj15ELj5E21rocsparse_complex_numIfEEEvi20rocsparse_direction_NS_24const_host_device_scalarIT2_EEPKiS8_PKS5_iiSA_S6_PS5_21rocsparse_index_base_b,"axG",@progbits,_ZN9rocsparseL22gebsrmvn_mxn_16_kernelILj75ELj15ELj5E21rocsparse_complex_numIfEEEvi20rocsparse_direction_NS_24const_host_device_scalarIT2_EEPKiS8_PKS5_iiSA_S6_PS5_21rocsparse_index_base_b,comdat
	.globl	_ZN9rocsparseL22gebsrmvn_mxn_16_kernelILj75ELj15ELj5E21rocsparse_complex_numIfEEEvi20rocsparse_direction_NS_24const_host_device_scalarIT2_EEPKiS8_PKS5_iiSA_S6_PS5_21rocsparse_index_base_b ; -- Begin function _ZN9rocsparseL22gebsrmvn_mxn_16_kernelILj75ELj15ELj5E21rocsparse_complex_numIfEEEvi20rocsparse_direction_NS_24const_host_device_scalarIT2_EEPKiS8_PKS5_iiSA_S6_PS5_21rocsparse_index_base_b
	.p2align	8
	.type	_ZN9rocsparseL22gebsrmvn_mxn_16_kernelILj75ELj15ELj5E21rocsparse_complex_numIfEEEvi20rocsparse_direction_NS_24const_host_device_scalarIT2_EEPKiS8_PKS5_iiSA_S6_PS5_21rocsparse_index_base_b,@function
_ZN9rocsparseL22gebsrmvn_mxn_16_kernelILj75ELj15ELj5E21rocsparse_complex_numIfEEEvi20rocsparse_direction_NS_24const_host_device_scalarIT2_EEPKiS8_PKS5_iiSA_S6_PS5_21rocsparse_index_base_b: ; @_ZN9rocsparseL22gebsrmvn_mxn_16_kernelILj75ELj15ELj5E21rocsparse_complex_numIfEEEvi20rocsparse_direction_NS_24const_host_device_scalarIT2_EEPKiS8_PKS5_iiSA_S6_PS5_21rocsparse_index_base_b
; %bb.0:
	s_clause 0x2
	s_load_b64 s[10:11], s[0:1], 0x48
	s_load_b64 s[2:3], s[0:1], 0x8
	;; [unrolled: 1-line block ×3, first 2 shown]
	v_mov_b32_e32 v1, 0
	s_add_nc_u64 s[6:7], s[0:1], 8
	s_add_nc_u64 s[8:9], s[0:1], 56
	s_wait_kmcnt 0x0
	s_bitcmp1_b32 s11, 0
	s_cselect_b32 s3, s7, s3
	s_cselect_b32 s2, s6, s2
	s_cselect_b32 s5, s9, s5
	s_cselect_b32 s4, s8, s4
	s_clause 0x1
	flat_load_b64 v[2:3], v1, s[2:3]
	flat_load_b64 v[4:5], v1, s[4:5]
	s_wait_loadcnt_dscnt 0x101
	v_cmp_eq_f32_e32 vcc_lo, 0, v2
	v_cmp_eq_f32_e64 s2, 0, v3
	s_wait_loadcnt_dscnt 0x0
	v_cmp_eq_f32_e64 s3, 1.0, v4
	v_cmp_eq_f32_e64 s4, 0, v5
	s_and_b32 s2, vcc_lo, s2
	s_and_b32 s3, s3, s4
	s_delay_alu instid0(SALU_CYCLE_1) | instskip(NEXT) | instid1(SALU_CYCLE_1)
	s_and_b32 s2, s2, s3
	s_xor_b32 s2, s2, -1
	s_delay_alu instid0(SALU_CYCLE_1)
	s_and_saveexec_b32 s3, s2
	s_cbranch_execz .LBB90_34
; %bb.1:
	v_mul_u32_u24_e32 v1, 0x3334, v0
	s_clause 0x1
	s_load_b32 s4, s[0:1], 0x4
	s_load_b64 s[2:3], s[0:1], 0x10
	v_and_b32_e32 v6, 0xffff, v0
	v_lshrrev_b32_e32 v1, 16, v1
	s_delay_alu instid0(VALU_DEP_1) | instskip(NEXT) | instid1(VALU_DEP_1)
	v_mul_lo_u16 v1, v1, 5
	v_sub_nc_u16 v1, v0, v1
	s_delay_alu instid0(VALU_DEP_1) | instskip(SKIP_3) | instid1(SALU_CYCLE_1)
	v_and_b32_e32 v8, 0xffff, v1
	s_wait_kmcnt 0x0
	s_cmp_lg_u32 s4, 1
	s_cselect_b32 s11, -1, 0
	s_and_b32 vcc_lo, exec_lo, s11
	v_mov_b32_e32 v1, v8
	s_cbranch_vccnz .LBB90_3
; %bb.2:
	v_mul_u32_u24_e32 v1, 0x1112, v6
	s_delay_alu instid0(VALU_DEP_1) | instskip(NEXT) | instid1(VALU_DEP_1)
	v_lshrrev_b32_e32 v1, 16, v1
	v_mul_lo_u16 v7, v1, 52
	s_delay_alu instid0(VALU_DEP_1) | instskip(NEXT) | instid1(VALU_DEP_1)
	v_lshrrev_b16 v7, 8, v7
	v_mul_lo_u16 v7, v7, 5
	s_delay_alu instid0(VALU_DEP_1) | instskip(NEXT) | instid1(VALU_DEP_1)
	v_sub_nc_u16 v1, v1, v7
	v_and_b32_e32 v1, 0xff, v1
.LBB90_3:
	s_bfe_u32 s4, ttmp6, 0x4000c
	s_and_b32 s5, ttmp6, 15
	s_add_co_i32 s4, s4, 1
	s_getreg_b32 s6, hwreg(HW_REG_IB_STS2, 6, 4)
	s_mul_i32 s4, ttmp9, s4
	s_delay_alu instid0(SALU_CYCLE_1) | instskip(SKIP_2) | instid1(SALU_CYCLE_1)
	s_add_co_i32 s5, s5, s4
	s_cmp_eq_u32 s6, 0
	s_cselect_b32 s8, ttmp9, s5
	s_ashr_i32 s9, s8, 31
	s_delay_alu instid0(SALU_CYCLE_1) | instskip(NEXT) | instid1(SALU_CYCLE_1)
	s_lshl_b64 s[4:5], s[8:9], 2
	s_add_nc_u64 s[4:5], s[2:3], s[4:5]
	s_load_b64 s[14:15], s[4:5], 0x0
	s_load_b64 s[2:3], s[0:1], 0x40
	s_wait_kmcnt 0x0
	s_cmp_ge_i32 s14, s15
	s_cbranch_scc1 .LBB90_8
; %bb.4:
	s_clause 0x1
	s_load_b128 s[4:7], s[0:1], 0x18
	s_load_b64 s[12:13], s[0:1], 0x30
	v_mad_u32 v10, 0x4b, s14, v0
	v_mul_u32_u24_e32 v9, 0x36a, v6
	s_wait_xcnt 0x0
	s_mul_i32 s0, s10, 0x4b
	v_mov_b64_e32 v[6:7], 0
	s_sub_co_i32 s1, s14, s10
	v_lshrrev_b32_e32 v9, 16, v9
	s_delay_alu instid0(VALU_DEP_4)
	v_subrev_nc_u32_e32 v10, s0, v10
	s_sub_co_i32 s0, s15, s10
	s_branch .LBB90_6
.LBB90_5:                               ;   in Loop: Header=BB90_6 Depth=1
	s_or_b32 exec_lo, exec_lo, s9
	v_add_nc_u32_e32 v10, 0x4b, v10
	s_add_co_i32 s1, s1, 1
	s_delay_alu instid0(SALU_CYCLE_1)
	s_cmp_ge_i32 s1, s0
	s_cbranch_scc1 .LBB90_9
.LBB90_6:                               ; =>This Inner Loop Header: Depth=1
	s_delay_alu instid0(VALU_DEP_2) | instskip(SKIP_1) | instid1(VALU_DEP_1)
	v_add_nc_u32_e32 v11, s1, v9
	s_mov_b32 s9, exec_lo
	v_cmpx_gt_i32_e64 s0, v11
	s_cbranch_execz .LBB90_5
; %bb.7:                                ;   in Loop: Header=BB90_6 Depth=1
	s_wait_kmcnt 0x0
	global_load_b32 v11, v11, s[4:5] scale_offset
	s_wait_loadcnt 0x0
	v_subrev_nc_u32_e32 v11, s10, v11
	s_delay_alu instid0(VALU_DEP_1) | instskip(SKIP_4) | instid1(VALU_DEP_1)
	v_mad_u32 v11, v11, 5, v1
	global_load_b64 v[12:13], v11, s[12:13] scale_offset
	global_load_b64 v[14:15], v10, s[6:7] scale_offset
	s_wait_loadcnt 0x0
	v_pk_fma_f32 v[6:7], v[14:15], v[12:13], v[6:7] op_sel_hi:[1,0,1]
	v_pk_fma_f32 v[6:7], v[14:15], v[12:13], v[6:7] op_sel:[1,1,0] op_sel_hi:[0,1,1] neg_lo:[1,0,0]
	s_branch .LBB90_5
.LBB90_8:
	v_mov_b64_e32 v[6:7], 0
.LBB90_9:
	v_lshlrev_b32_e32 v1, 3, v0
	s_and_b32 vcc_lo, exec_lo, s11
	ds_store_b64 v1, v[6:7]
	s_wait_dscnt 0x0
	s_barrier_signal -1
	s_barrier_wait -1
	s_cbranch_vccz .LBB90_19
; %bb.10:
	v_cmp_eq_u16_e32 vcc_lo, 0, v8
	s_and_saveexec_b32 s0, vcc_lo
	s_cbranch_execz .LBB90_12
; %bb.11:
	ds_load_2addr_b64 v[10:13], v1 offset1:4
	s_wait_dscnt 0x0
	v_pk_add_f32 v[10:11], v[12:13], v[10:11]
	ds_store_b64 v1, v[10:11]
.LBB90_12:
	s_or_b32 exec_lo, exec_lo, s0
	s_delay_alu instid0(SALU_CYCLE_1)
	s_mov_b32 s1, exec_lo
	s_wait_dscnt 0x0
	s_barrier_signal -1
	s_barrier_wait -1
	v_cmpx_gt_u16_e32 2, v8
	s_cbranch_execz .LBB90_14
; %bb.13:
	ds_load_2addr_b64 v[8:11], v1 offset1:2
	s_wait_dscnt 0x0
	v_pk_add_f32 v[8:9], v[10:11], v[8:9]
	ds_store_b64 v1, v[8:9]
.LBB90_14:
	s_or_b32 exec_lo, exec_lo, s1
	s_wait_dscnt 0x0
	s_barrier_signal -1
	s_barrier_wait -1
	s_and_saveexec_b32 s0, vcc_lo
	s_cbranch_execz .LBB90_16
; %bb.15:
	ds_load_2addr_b64 v[8:11], v1 offset1:1
	s_wait_dscnt 0x0
	v_pk_add_f32 v[8:9], v[10:11], v[8:9]
	ds_store_b64 v1, v[8:9]
.LBB90_16:
	s_or_b32 exec_lo, exec_lo, s0
	v_mov_b64_e32 v[8:9], v[6:7]
	s_mov_b32 s0, exec_lo
	s_wait_dscnt 0x0
	s_barrier_signal -1
	s_barrier_wait -1
	v_cmpx_gt_u32_e32 15, v0
; %bb.17:
	v_lshl_add_u32 v8, v0, 5, v1
	ds_load_b64 v[8:9], v8
; %bb.18:
	s_or_b32 exec_lo, exec_lo, s0
	v_cmp_gt_u32_e64 s0, 15, v0
	s_branch .LBB90_29
.LBB90_19:
                                        ; implicit-def: $vgpr8_vgpr9
	v_cmp_gt_u32_e64 s0, 15, v0
	s_cbranch_execz .LBB90_29
; %bb.20:
	v_cmp_lt_u32_e32 vcc_lo, 14, v0
	s_and_saveexec_b32 s1, s0
	s_cbranch_execz .LBB90_22
; %bb.21:
	s_wait_dscnt 0x0
	ds_load_2addr_b64 v[8:11], v1 offset1:60
	s_wait_dscnt 0x0
	v_pk_add_f32 v[8:9], v[10:11], v[8:9]
	ds_store_b64 v1, v[8:9]
.LBB90_22:
	s_or_b32 exec_lo, exec_lo, s1
	s_delay_alu instid0(SALU_CYCLE_1)
	s_mov_b32 s1, exec_lo
	s_wait_dscnt 0x0
	s_barrier_signal -1
	s_barrier_wait -1
	v_cmpx_gt_u32_e32 30, v0
	s_cbranch_execz .LBB90_24
; %bb.23:
	ds_load_2addr_b64 v[8:11], v1 offset1:30
	s_wait_dscnt 0x0
	v_pk_add_f32 v[8:9], v[10:11], v[8:9]
	ds_store_b64 v1, v[8:9]
.LBB90_24:
	s_or_b32 exec_lo, exec_lo, s1
	s_wait_dscnt 0x0
	s_and_saveexec_b32 s0, vcc_lo
	s_delay_alu instid0(SALU_CYCLE_1)
	s_xor_b32 s0, exec_lo, s0
; %bb.25:
                                        ; implicit-def: $vgpr1
; %bb.26:
	s_delay_alu instid0(SALU_CYCLE_1)
	s_and_not1_saveexec_b32 s0, s0
	s_cbranch_execz .LBB90_28
; %bb.27:
	ds_load_2addr_b64 v[6:9], v1 offset1:15
	s_wait_dscnt 0x0
	v_pk_add_f32 v[6:7], v[8:9], v[6:7]
	ds_store_b64 v1, v[6:7]
	s_wait_dscnt 0x0
	ds_load_b64 v[6:7], v1
.LBB90_28:
	s_or_b32 exec_lo, exec_lo, s0
	s_wait_dscnt 0x0
	v_mov_b64_e32 v[8:9], v[6:7]
.LBB90_29:
	v_cmp_gt_u32_e32 vcc_lo, 15, v0
	s_and_b32 exec_lo, exec_lo, vcc_lo
	s_cbranch_execz .LBB90_34
; %bb.30:
	v_mad_u32 v6, s8, 15, v0
	v_cmp_eq_f32_e32 vcc_lo, 0, v4
	v_cmp_eq_f32_e64 s0, 0, v5
	v_xor_b32_e32 v0, 0x80000000, v3
	s_and_b32 s0, vcc_lo, s0
	s_delay_alu instid0(SALU_CYCLE_1) | instskip(NEXT) | instid1(SALU_CYCLE_1)
	s_and_saveexec_b32 s1, s0
	s_xor_b32 s0, exec_lo, s1
	s_cbranch_execz .LBB90_32
; %bb.31:
	v_mov_b32_e32 v1, v2
                                        ; implicit-def: $vgpr4_vgpr5
	s_wait_dscnt 0x0
	s_delay_alu instid0(VALU_DEP_1) | instskip(NEXT) | instid1(VALU_DEP_1)
	v_pk_mul_f32 v[0:1], v[8:9], v[0:1] op_sel:[1,0]
	v_pk_fma_f32 v[0:1], v[2:3], v[8:9], v[0:1] op_sel_hi:[1,0,1]
                                        ; implicit-def: $vgpr2_vgpr3
                                        ; implicit-def: $vgpr8_vgpr9
	global_store_b64 v6, v[0:1], s[2:3] scale_offset
                                        ; implicit-def: $vgpr6
                                        ; implicit-def: $vgpr0
.LBB90_32:
	s_wait_xcnt 0x0
	s_and_not1_saveexec_b32 s0, s0
	s_cbranch_execz .LBB90_34
; %bb.33:
	global_load_b64 v[10:11], v6, s[2:3] scale_offset
	v_mov_b32_e32 v1, v2
	s_wait_dscnt 0x0
	s_delay_alu instid0(VALU_DEP_1) | instskip(NEXT) | instid1(VALU_DEP_1)
	v_pk_mul_f32 v[0:1], v[8:9], v[0:1] op_sel:[1,0]
	v_pk_fma_f32 v[0:1], v[2:3], v[8:9], v[0:1] op_sel_hi:[1,0,1]
	v_xor_b32_e32 v2, 0x80000000, v5
	v_mov_b32_e32 v3, v4
	s_wait_loadcnt 0x0
	s_delay_alu instid0(VALU_DEP_3) | instskip(NEXT) | instid1(VALU_DEP_1)
	v_pk_fma_f32 v[0:1], v[4:5], v[10:11], v[0:1] op_sel_hi:[1,0,1]
	v_pk_fma_f32 v[0:1], v[2:3], v[10:11], v[0:1] op_sel:[0,1,0]
	global_store_b64 v6, v[0:1], s[2:3] scale_offset
.LBB90_34:
	s_endpgm
	.section	.rodata,"a",@progbits
	.p2align	6, 0x0
	.amdhsa_kernel _ZN9rocsparseL22gebsrmvn_mxn_16_kernelILj75ELj15ELj5E21rocsparse_complex_numIfEEEvi20rocsparse_direction_NS_24const_host_device_scalarIT2_EEPKiS8_PKS5_iiSA_S6_PS5_21rocsparse_index_base_b
		.amdhsa_group_segment_fixed_size 600
		.amdhsa_private_segment_fixed_size 0
		.amdhsa_kernarg_size 80
		.amdhsa_user_sgpr_count 2
		.amdhsa_user_sgpr_dispatch_ptr 0
		.amdhsa_user_sgpr_queue_ptr 0
		.amdhsa_user_sgpr_kernarg_segment_ptr 1
		.amdhsa_user_sgpr_dispatch_id 0
		.amdhsa_user_sgpr_kernarg_preload_length 0
		.amdhsa_user_sgpr_kernarg_preload_offset 0
		.amdhsa_user_sgpr_private_segment_size 0
		.amdhsa_wavefront_size32 1
		.amdhsa_uses_dynamic_stack 0
		.amdhsa_enable_private_segment 0
		.amdhsa_system_sgpr_workgroup_id_x 1
		.amdhsa_system_sgpr_workgroup_id_y 0
		.amdhsa_system_sgpr_workgroup_id_z 0
		.amdhsa_system_sgpr_workgroup_info 0
		.amdhsa_system_vgpr_workitem_id 0
		.amdhsa_next_free_vgpr 16
		.amdhsa_next_free_sgpr 16
		.amdhsa_named_barrier_count 0
		.amdhsa_reserve_vcc 1
		.amdhsa_float_round_mode_32 0
		.amdhsa_float_round_mode_16_64 0
		.amdhsa_float_denorm_mode_32 3
		.amdhsa_float_denorm_mode_16_64 3
		.amdhsa_fp16_overflow 0
		.amdhsa_memory_ordered 1
		.amdhsa_forward_progress 1
		.amdhsa_inst_pref_size 10
		.amdhsa_round_robin_scheduling 0
		.amdhsa_exception_fp_ieee_invalid_op 0
		.amdhsa_exception_fp_denorm_src 0
		.amdhsa_exception_fp_ieee_div_zero 0
		.amdhsa_exception_fp_ieee_overflow 0
		.amdhsa_exception_fp_ieee_underflow 0
		.amdhsa_exception_fp_ieee_inexact 0
		.amdhsa_exception_int_div_zero 0
	.end_amdhsa_kernel
	.section	.text._ZN9rocsparseL22gebsrmvn_mxn_16_kernelILj75ELj15ELj5E21rocsparse_complex_numIfEEEvi20rocsparse_direction_NS_24const_host_device_scalarIT2_EEPKiS8_PKS5_iiSA_S6_PS5_21rocsparse_index_base_b,"axG",@progbits,_ZN9rocsparseL22gebsrmvn_mxn_16_kernelILj75ELj15ELj5E21rocsparse_complex_numIfEEEvi20rocsparse_direction_NS_24const_host_device_scalarIT2_EEPKiS8_PKS5_iiSA_S6_PS5_21rocsparse_index_base_b,comdat
.Lfunc_end90:
	.size	_ZN9rocsparseL22gebsrmvn_mxn_16_kernelILj75ELj15ELj5E21rocsparse_complex_numIfEEEvi20rocsparse_direction_NS_24const_host_device_scalarIT2_EEPKiS8_PKS5_iiSA_S6_PS5_21rocsparse_index_base_b, .Lfunc_end90-_ZN9rocsparseL22gebsrmvn_mxn_16_kernelILj75ELj15ELj5E21rocsparse_complex_numIfEEEvi20rocsparse_direction_NS_24const_host_device_scalarIT2_EEPKiS8_PKS5_iiSA_S6_PS5_21rocsparse_index_base_b
                                        ; -- End function
	.set _ZN9rocsparseL22gebsrmvn_mxn_16_kernelILj75ELj15ELj5E21rocsparse_complex_numIfEEEvi20rocsparse_direction_NS_24const_host_device_scalarIT2_EEPKiS8_PKS5_iiSA_S6_PS5_21rocsparse_index_base_b.num_vgpr, 16
	.set _ZN9rocsparseL22gebsrmvn_mxn_16_kernelILj75ELj15ELj5E21rocsparse_complex_numIfEEEvi20rocsparse_direction_NS_24const_host_device_scalarIT2_EEPKiS8_PKS5_iiSA_S6_PS5_21rocsparse_index_base_b.num_agpr, 0
	.set _ZN9rocsparseL22gebsrmvn_mxn_16_kernelILj75ELj15ELj5E21rocsparse_complex_numIfEEEvi20rocsparse_direction_NS_24const_host_device_scalarIT2_EEPKiS8_PKS5_iiSA_S6_PS5_21rocsparse_index_base_b.numbered_sgpr, 16
	.set _ZN9rocsparseL22gebsrmvn_mxn_16_kernelILj75ELj15ELj5E21rocsparse_complex_numIfEEEvi20rocsparse_direction_NS_24const_host_device_scalarIT2_EEPKiS8_PKS5_iiSA_S6_PS5_21rocsparse_index_base_b.num_named_barrier, 0
	.set _ZN9rocsparseL22gebsrmvn_mxn_16_kernelILj75ELj15ELj5E21rocsparse_complex_numIfEEEvi20rocsparse_direction_NS_24const_host_device_scalarIT2_EEPKiS8_PKS5_iiSA_S6_PS5_21rocsparse_index_base_b.private_seg_size, 0
	.set _ZN9rocsparseL22gebsrmvn_mxn_16_kernelILj75ELj15ELj5E21rocsparse_complex_numIfEEEvi20rocsparse_direction_NS_24const_host_device_scalarIT2_EEPKiS8_PKS5_iiSA_S6_PS5_21rocsparse_index_base_b.uses_vcc, 1
	.set _ZN9rocsparseL22gebsrmvn_mxn_16_kernelILj75ELj15ELj5E21rocsparse_complex_numIfEEEvi20rocsparse_direction_NS_24const_host_device_scalarIT2_EEPKiS8_PKS5_iiSA_S6_PS5_21rocsparse_index_base_b.uses_flat_scratch, 1
	.set _ZN9rocsparseL22gebsrmvn_mxn_16_kernelILj75ELj15ELj5E21rocsparse_complex_numIfEEEvi20rocsparse_direction_NS_24const_host_device_scalarIT2_EEPKiS8_PKS5_iiSA_S6_PS5_21rocsparse_index_base_b.has_dyn_sized_stack, 0
	.set _ZN9rocsparseL22gebsrmvn_mxn_16_kernelILj75ELj15ELj5E21rocsparse_complex_numIfEEEvi20rocsparse_direction_NS_24const_host_device_scalarIT2_EEPKiS8_PKS5_iiSA_S6_PS5_21rocsparse_index_base_b.has_recursion, 0
	.set _ZN9rocsparseL22gebsrmvn_mxn_16_kernelILj75ELj15ELj5E21rocsparse_complex_numIfEEEvi20rocsparse_direction_NS_24const_host_device_scalarIT2_EEPKiS8_PKS5_iiSA_S6_PS5_21rocsparse_index_base_b.has_indirect_call, 0
	.section	.AMDGPU.csdata,"",@progbits
; Kernel info:
; codeLenInByte = 1272
; TotalNumSgprs: 18
; NumVgprs: 16
; ScratchSize: 0
; MemoryBound: 0
; FloatMode: 240
; IeeeMode: 1
; LDSByteSize: 600 bytes/workgroup (compile time only)
; SGPRBlocks: 0
; VGPRBlocks: 0
; NumSGPRsForWavesPerEU: 18
; NumVGPRsForWavesPerEU: 16
; NamedBarCnt: 0
; Occupancy: 16
; WaveLimiterHint : 1
; COMPUTE_PGM_RSRC2:SCRATCH_EN: 0
; COMPUTE_PGM_RSRC2:USER_SGPR: 2
; COMPUTE_PGM_RSRC2:TRAP_HANDLER: 0
; COMPUTE_PGM_RSRC2:TGID_X_EN: 1
; COMPUTE_PGM_RSRC2:TGID_Y_EN: 0
; COMPUTE_PGM_RSRC2:TGID_Z_EN: 0
; COMPUTE_PGM_RSRC2:TIDIG_COMP_CNT: 0
	.section	.text._ZN9rocsparseL22gebsrmvn_mxn_16_kernelILj90ELj15ELj6E21rocsparse_complex_numIfEEEvi20rocsparse_direction_NS_24const_host_device_scalarIT2_EEPKiS8_PKS5_iiSA_S6_PS5_21rocsparse_index_base_b,"axG",@progbits,_ZN9rocsparseL22gebsrmvn_mxn_16_kernelILj90ELj15ELj6E21rocsparse_complex_numIfEEEvi20rocsparse_direction_NS_24const_host_device_scalarIT2_EEPKiS8_PKS5_iiSA_S6_PS5_21rocsparse_index_base_b,comdat
	.globl	_ZN9rocsparseL22gebsrmvn_mxn_16_kernelILj90ELj15ELj6E21rocsparse_complex_numIfEEEvi20rocsparse_direction_NS_24const_host_device_scalarIT2_EEPKiS8_PKS5_iiSA_S6_PS5_21rocsparse_index_base_b ; -- Begin function _ZN9rocsparseL22gebsrmvn_mxn_16_kernelILj90ELj15ELj6E21rocsparse_complex_numIfEEEvi20rocsparse_direction_NS_24const_host_device_scalarIT2_EEPKiS8_PKS5_iiSA_S6_PS5_21rocsparse_index_base_b
	.p2align	8
	.type	_ZN9rocsparseL22gebsrmvn_mxn_16_kernelILj90ELj15ELj6E21rocsparse_complex_numIfEEEvi20rocsparse_direction_NS_24const_host_device_scalarIT2_EEPKiS8_PKS5_iiSA_S6_PS5_21rocsparse_index_base_b,@function
_ZN9rocsparseL22gebsrmvn_mxn_16_kernelILj90ELj15ELj6E21rocsparse_complex_numIfEEEvi20rocsparse_direction_NS_24const_host_device_scalarIT2_EEPKiS8_PKS5_iiSA_S6_PS5_21rocsparse_index_base_b: ; @_ZN9rocsparseL22gebsrmvn_mxn_16_kernelILj90ELj15ELj6E21rocsparse_complex_numIfEEEvi20rocsparse_direction_NS_24const_host_device_scalarIT2_EEPKiS8_PKS5_iiSA_S6_PS5_21rocsparse_index_base_b
; %bb.0:
	s_clause 0x2
	s_load_b64 s[10:11], s[0:1], 0x48
	s_load_b64 s[2:3], s[0:1], 0x8
	;; [unrolled: 1-line block ×3, first 2 shown]
	v_mov_b32_e32 v1, 0
	s_add_nc_u64 s[6:7], s[0:1], 8
	s_add_nc_u64 s[8:9], s[0:1], 56
	s_wait_kmcnt 0x0
	s_bitcmp1_b32 s11, 0
	s_cselect_b32 s3, s7, s3
	s_cselect_b32 s2, s6, s2
	s_cselect_b32 s5, s9, s5
	s_cselect_b32 s4, s8, s4
	s_clause 0x1
	flat_load_b64 v[2:3], v1, s[2:3]
	flat_load_b64 v[4:5], v1, s[4:5]
	s_wait_loadcnt_dscnt 0x101
	v_cmp_eq_f32_e32 vcc_lo, 0, v2
	v_cmp_eq_f32_e64 s2, 0, v3
	s_wait_loadcnt_dscnt 0x0
	v_cmp_eq_f32_e64 s3, 1.0, v4
	v_cmp_eq_f32_e64 s4, 0, v5
	s_and_b32 s2, vcc_lo, s2
	s_and_b32 s3, s3, s4
	s_delay_alu instid0(SALU_CYCLE_1) | instskip(NEXT) | instid1(SALU_CYCLE_1)
	s_and_b32 s2, s2, s3
	s_xor_b32 s2, s2, -1
	s_delay_alu instid0(SALU_CYCLE_1)
	s_and_saveexec_b32 s3, s2
	s_cbranch_execz .LBB91_34
; %bb.1:
	v_mul_u32_u24_e32 v1, 0x2aab, v0
	s_clause 0x1
	s_load_b32 s4, s[0:1], 0x4
	s_load_b64 s[2:3], s[0:1], 0x10
	v_and_b32_e32 v6, 0xffff, v0
	v_lshrrev_b32_e32 v1, 16, v1
	s_delay_alu instid0(VALU_DEP_1) | instskip(NEXT) | instid1(VALU_DEP_1)
	v_mul_lo_u16 v1, v1, 6
	v_sub_nc_u16 v1, v0, v1
	s_delay_alu instid0(VALU_DEP_1) | instskip(SKIP_3) | instid1(SALU_CYCLE_1)
	v_and_b32_e32 v8, 0xffff, v1
	s_wait_kmcnt 0x0
	s_cmp_lg_u32 s4, 1
	s_cselect_b32 s11, -1, 0
	s_and_b32 vcc_lo, exec_lo, s11
	v_mov_b32_e32 v1, v8
	s_cbranch_vccnz .LBB91_3
; %bb.2:
	v_mul_u32_u24_e32 v1, 0x1112, v6
	s_delay_alu instid0(VALU_DEP_1) | instskip(NEXT) | instid1(VALU_DEP_1)
	v_lshrrev_b32_e32 v1, 16, v1
	v_mul_lo_u16 v7, v1, 43
	s_delay_alu instid0(VALU_DEP_1) | instskip(NEXT) | instid1(VALU_DEP_1)
	v_lshrrev_b16 v7, 8, v7
	v_mul_lo_u16 v7, v7, 6
	s_delay_alu instid0(VALU_DEP_1) | instskip(NEXT) | instid1(VALU_DEP_1)
	v_sub_nc_u16 v1, v1, v7
	v_and_b32_e32 v1, 0xff, v1
.LBB91_3:
	s_bfe_u32 s4, ttmp6, 0x4000c
	s_and_b32 s5, ttmp6, 15
	s_add_co_i32 s4, s4, 1
	s_getreg_b32 s6, hwreg(HW_REG_IB_STS2, 6, 4)
	s_mul_i32 s4, ttmp9, s4
	s_delay_alu instid0(SALU_CYCLE_1) | instskip(SKIP_2) | instid1(SALU_CYCLE_1)
	s_add_co_i32 s5, s5, s4
	s_cmp_eq_u32 s6, 0
	s_cselect_b32 s8, ttmp9, s5
	s_ashr_i32 s9, s8, 31
	s_delay_alu instid0(SALU_CYCLE_1) | instskip(NEXT) | instid1(SALU_CYCLE_1)
	s_lshl_b64 s[4:5], s[8:9], 2
	s_add_nc_u64 s[4:5], s[2:3], s[4:5]
	s_load_b64 s[14:15], s[4:5], 0x0
	s_load_b64 s[2:3], s[0:1], 0x40
	s_wait_kmcnt 0x0
	s_cmp_ge_i32 s14, s15
	s_cbranch_scc1 .LBB91_8
; %bb.4:
	s_clause 0x1
	s_load_b128 s[4:7], s[0:1], 0x18
	s_load_b64 s[12:13], s[0:1], 0x30
	v_mad_u32 v10, 0x5a, s14, v0
	v_mul_u32_u24_e32 v9, 0x2d9, v6
	s_wait_xcnt 0x0
	s_mul_i32 s0, s10, 0x5a
	v_mov_b64_e32 v[6:7], 0
	s_sub_co_i32 s1, s14, s10
	v_lshrrev_b32_e32 v9, 16, v9
	s_delay_alu instid0(VALU_DEP_4)
	v_subrev_nc_u32_e32 v10, s0, v10
	s_sub_co_i32 s0, s15, s10
	s_branch .LBB91_6
.LBB91_5:                               ;   in Loop: Header=BB91_6 Depth=1
	s_or_b32 exec_lo, exec_lo, s9
	v_add_nc_u32_e32 v10, 0x5a, v10
	s_add_co_i32 s1, s1, 1
	s_delay_alu instid0(SALU_CYCLE_1)
	s_cmp_ge_i32 s1, s0
	s_cbranch_scc1 .LBB91_9
.LBB91_6:                               ; =>This Inner Loop Header: Depth=1
	s_delay_alu instid0(VALU_DEP_2) | instskip(SKIP_1) | instid1(VALU_DEP_1)
	v_add_nc_u32_e32 v11, s1, v9
	s_mov_b32 s9, exec_lo
	v_cmpx_gt_i32_e64 s0, v11
	s_cbranch_execz .LBB91_5
; %bb.7:                                ;   in Loop: Header=BB91_6 Depth=1
	s_wait_kmcnt 0x0
	global_load_b32 v11, v11, s[4:5] scale_offset
	s_wait_loadcnt 0x0
	v_subrev_nc_u32_e32 v11, s10, v11
	s_delay_alu instid0(VALU_DEP_1) | instskip(SKIP_4) | instid1(VALU_DEP_1)
	v_mad_u32 v11, v11, 6, v1
	global_load_b64 v[12:13], v11, s[12:13] scale_offset
	global_load_b64 v[14:15], v10, s[6:7] scale_offset
	s_wait_loadcnt 0x0
	v_pk_fma_f32 v[6:7], v[14:15], v[12:13], v[6:7] op_sel_hi:[1,0,1]
	v_pk_fma_f32 v[6:7], v[14:15], v[12:13], v[6:7] op_sel:[1,1,0] op_sel_hi:[0,1,1] neg_lo:[1,0,0]
	s_branch .LBB91_5
.LBB91_8:
	v_mov_b64_e32 v[6:7], 0
.LBB91_9:
	v_lshlrev_b32_e32 v1, 3, v0
	s_and_b32 vcc_lo, exec_lo, s11
	ds_store_b64 v1, v[6:7]
	s_wait_dscnt 0x0
	s_barrier_signal -1
	s_barrier_wait -1
	s_cbranch_vccz .LBB91_19
; %bb.10:
	v_cmp_gt_u16_e32 vcc_lo, 2, v8
	s_and_saveexec_b32 s0, vcc_lo
	s_cbranch_execz .LBB91_12
; %bb.11:
	ds_load_2addr_b64 v[10:13], v1 offset1:4
	s_wait_dscnt 0x0
	v_pk_add_f32 v[10:11], v[12:13], v[10:11]
	ds_store_b64 v1, v[10:11]
.LBB91_12:
	s_or_b32 exec_lo, exec_lo, s0
	s_wait_dscnt 0x0
	s_barrier_signal -1
	s_barrier_wait -1
	s_and_saveexec_b32 s0, vcc_lo
	s_cbranch_execz .LBB91_14
; %bb.13:
	ds_load_2addr_b64 v[10:13], v1 offset1:2
	s_wait_dscnt 0x0
	v_pk_add_f32 v[10:11], v[12:13], v[10:11]
	ds_store_b64 v1, v[10:11]
.LBB91_14:
	s_or_b32 exec_lo, exec_lo, s0
	s_delay_alu instid0(SALU_CYCLE_1)
	s_mov_b32 s0, exec_lo
	s_wait_dscnt 0x0
	s_barrier_signal -1
	s_barrier_wait -1
	v_cmpx_eq_u16_e32 0, v8
	s_cbranch_execz .LBB91_16
; %bb.15:
	ds_load_2addr_b64 v[8:11], v1 offset1:1
	s_wait_dscnt 0x0
	v_pk_add_f32 v[8:9], v[10:11], v[8:9]
	ds_store_b64 v1, v[8:9]
.LBB91_16:
	s_or_b32 exec_lo, exec_lo, s0
	v_mov_b64_e32 v[8:9], v[6:7]
	s_mov_b32 s0, exec_lo
	s_wait_dscnt 0x0
	s_barrier_signal -1
	s_barrier_wait -1
	v_cmpx_gt_u32_e32 15, v0
; %bb.17:
	v_mad_u32_u24 v8, v0, 40, v1
	ds_load_b64 v[8:9], v8
; %bb.18:
	s_or_b32 exec_lo, exec_lo, s0
	s_branch .LBB91_29
.LBB91_19:
                                        ; implicit-def: $vgpr8_vgpr9
	s_cbranch_execz .LBB91_29
; %bb.20:
	v_cmp_gt_u32_e32 vcc_lo, 30, v0
	s_and_saveexec_b32 s0, vcc_lo
	s_cbranch_execz .LBB91_22
; %bb.21:
	s_wait_dscnt 0x0
	ds_load_2addr_b64 v[8:11], v1 offset1:60
	s_wait_dscnt 0x0
	v_pk_add_f32 v[8:9], v[10:11], v[8:9]
	ds_store_b64 v1, v[8:9]
.LBB91_22:
	s_or_b32 exec_lo, exec_lo, s0
	s_wait_dscnt 0x0
	s_barrier_signal -1
	s_barrier_wait -1
	s_and_saveexec_b32 s0, vcc_lo
	s_cbranch_execz .LBB91_24
; %bb.23:
	ds_load_2addr_b64 v[8:11], v1 offset1:30
	s_wait_dscnt 0x0
	v_pk_add_f32 v[8:9], v[10:11], v[8:9]
	ds_store_b64 v1, v[8:9]
.LBB91_24:
	s_or_b32 exec_lo, exec_lo, s0
	s_delay_alu instid0(SALU_CYCLE_1)
	s_mov_b32 s0, exec_lo
	s_wait_dscnt 0x0
	v_cmpx_lt_u32_e32 14, v0
	s_xor_b32 s0, exec_lo, s0
; %bb.25:
                                        ; implicit-def: $vgpr1
; %bb.26:
	s_delay_alu instid0(SALU_CYCLE_1)
	s_and_not1_saveexec_b32 s0, s0
	s_cbranch_execz .LBB91_28
; %bb.27:
	ds_load_2addr_b64 v[6:9], v1 offset1:15
	s_wait_dscnt 0x0
	v_pk_add_f32 v[6:7], v[8:9], v[6:7]
	ds_store_b64 v1, v[6:7]
	s_wait_dscnt 0x0
	ds_load_b64 v[6:7], v1
.LBB91_28:
	s_or_b32 exec_lo, exec_lo, s0
	s_wait_dscnt 0x0
	v_mov_b64_e32 v[8:9], v[6:7]
.LBB91_29:
	v_cmp_gt_u32_e32 vcc_lo, 15, v0
	s_and_b32 exec_lo, exec_lo, vcc_lo
	s_cbranch_execz .LBB91_34
; %bb.30:
	v_mad_u32 v6, s8, 15, v0
	v_cmp_eq_f32_e32 vcc_lo, 0, v4
	v_cmp_eq_f32_e64 s0, 0, v5
	v_xor_b32_e32 v0, 0x80000000, v3
	s_and_b32 s0, vcc_lo, s0
	s_delay_alu instid0(SALU_CYCLE_1) | instskip(NEXT) | instid1(SALU_CYCLE_1)
	s_and_saveexec_b32 s1, s0
	s_xor_b32 s0, exec_lo, s1
	s_cbranch_execz .LBB91_32
; %bb.31:
	v_mov_b32_e32 v1, v2
                                        ; implicit-def: $vgpr4_vgpr5
	s_wait_dscnt 0x0
	s_delay_alu instid0(VALU_DEP_1) | instskip(NEXT) | instid1(VALU_DEP_1)
	v_pk_mul_f32 v[0:1], v[8:9], v[0:1] op_sel:[1,0]
	v_pk_fma_f32 v[0:1], v[2:3], v[8:9], v[0:1] op_sel_hi:[1,0,1]
                                        ; implicit-def: $vgpr2_vgpr3
                                        ; implicit-def: $vgpr8_vgpr9
	global_store_b64 v6, v[0:1], s[2:3] scale_offset
                                        ; implicit-def: $vgpr6
                                        ; implicit-def: $vgpr0
.LBB91_32:
	s_wait_xcnt 0x0
	s_and_not1_saveexec_b32 s0, s0
	s_cbranch_execz .LBB91_34
; %bb.33:
	global_load_b64 v[10:11], v6, s[2:3] scale_offset
	v_mov_b32_e32 v1, v2
	s_wait_dscnt 0x0
	s_delay_alu instid0(VALU_DEP_1) | instskip(NEXT) | instid1(VALU_DEP_1)
	v_pk_mul_f32 v[0:1], v[8:9], v[0:1] op_sel:[1,0]
	v_pk_fma_f32 v[0:1], v[2:3], v[8:9], v[0:1] op_sel_hi:[1,0,1]
	v_xor_b32_e32 v2, 0x80000000, v5
	v_mov_b32_e32 v3, v4
	s_wait_loadcnt 0x0
	s_delay_alu instid0(VALU_DEP_3) | instskip(NEXT) | instid1(VALU_DEP_1)
	v_pk_fma_f32 v[0:1], v[4:5], v[10:11], v[0:1] op_sel_hi:[1,0,1]
	v_pk_fma_f32 v[0:1], v[2:3], v[10:11], v[0:1] op_sel:[0,1,0]
	global_store_b64 v6, v[0:1], s[2:3] scale_offset
.LBB91_34:
	s_endpgm
	.section	.rodata,"a",@progbits
	.p2align	6, 0x0
	.amdhsa_kernel _ZN9rocsparseL22gebsrmvn_mxn_16_kernelILj90ELj15ELj6E21rocsparse_complex_numIfEEEvi20rocsparse_direction_NS_24const_host_device_scalarIT2_EEPKiS8_PKS5_iiSA_S6_PS5_21rocsparse_index_base_b
		.amdhsa_group_segment_fixed_size 720
		.amdhsa_private_segment_fixed_size 0
		.amdhsa_kernarg_size 80
		.amdhsa_user_sgpr_count 2
		.amdhsa_user_sgpr_dispatch_ptr 0
		.amdhsa_user_sgpr_queue_ptr 0
		.amdhsa_user_sgpr_kernarg_segment_ptr 1
		.amdhsa_user_sgpr_dispatch_id 0
		.amdhsa_user_sgpr_kernarg_preload_length 0
		.amdhsa_user_sgpr_kernarg_preload_offset 0
		.amdhsa_user_sgpr_private_segment_size 0
		.amdhsa_wavefront_size32 1
		.amdhsa_uses_dynamic_stack 0
		.amdhsa_enable_private_segment 0
		.amdhsa_system_sgpr_workgroup_id_x 1
		.amdhsa_system_sgpr_workgroup_id_y 0
		.amdhsa_system_sgpr_workgroup_id_z 0
		.amdhsa_system_sgpr_workgroup_info 0
		.amdhsa_system_vgpr_workitem_id 0
		.amdhsa_next_free_vgpr 16
		.amdhsa_next_free_sgpr 16
		.amdhsa_named_barrier_count 0
		.amdhsa_reserve_vcc 1
		.amdhsa_float_round_mode_32 0
		.amdhsa_float_round_mode_16_64 0
		.amdhsa_float_denorm_mode_32 3
		.amdhsa_float_denorm_mode_16_64 3
		.amdhsa_fp16_overflow 0
		.amdhsa_memory_ordered 1
		.amdhsa_forward_progress 1
		.amdhsa_inst_pref_size 10
		.amdhsa_round_robin_scheduling 0
		.amdhsa_exception_fp_ieee_invalid_op 0
		.amdhsa_exception_fp_denorm_src 0
		.amdhsa_exception_fp_ieee_div_zero 0
		.amdhsa_exception_fp_ieee_overflow 0
		.amdhsa_exception_fp_ieee_underflow 0
		.amdhsa_exception_fp_ieee_inexact 0
		.amdhsa_exception_int_div_zero 0
	.end_amdhsa_kernel
	.section	.text._ZN9rocsparseL22gebsrmvn_mxn_16_kernelILj90ELj15ELj6E21rocsparse_complex_numIfEEEvi20rocsparse_direction_NS_24const_host_device_scalarIT2_EEPKiS8_PKS5_iiSA_S6_PS5_21rocsparse_index_base_b,"axG",@progbits,_ZN9rocsparseL22gebsrmvn_mxn_16_kernelILj90ELj15ELj6E21rocsparse_complex_numIfEEEvi20rocsparse_direction_NS_24const_host_device_scalarIT2_EEPKiS8_PKS5_iiSA_S6_PS5_21rocsparse_index_base_b,comdat
.Lfunc_end91:
	.size	_ZN9rocsparseL22gebsrmvn_mxn_16_kernelILj90ELj15ELj6E21rocsparse_complex_numIfEEEvi20rocsparse_direction_NS_24const_host_device_scalarIT2_EEPKiS8_PKS5_iiSA_S6_PS5_21rocsparse_index_base_b, .Lfunc_end91-_ZN9rocsparseL22gebsrmvn_mxn_16_kernelILj90ELj15ELj6E21rocsparse_complex_numIfEEEvi20rocsparse_direction_NS_24const_host_device_scalarIT2_EEPKiS8_PKS5_iiSA_S6_PS5_21rocsparse_index_base_b
                                        ; -- End function
	.set _ZN9rocsparseL22gebsrmvn_mxn_16_kernelILj90ELj15ELj6E21rocsparse_complex_numIfEEEvi20rocsparse_direction_NS_24const_host_device_scalarIT2_EEPKiS8_PKS5_iiSA_S6_PS5_21rocsparse_index_base_b.num_vgpr, 16
	.set _ZN9rocsparseL22gebsrmvn_mxn_16_kernelILj90ELj15ELj6E21rocsparse_complex_numIfEEEvi20rocsparse_direction_NS_24const_host_device_scalarIT2_EEPKiS8_PKS5_iiSA_S6_PS5_21rocsparse_index_base_b.num_agpr, 0
	.set _ZN9rocsparseL22gebsrmvn_mxn_16_kernelILj90ELj15ELj6E21rocsparse_complex_numIfEEEvi20rocsparse_direction_NS_24const_host_device_scalarIT2_EEPKiS8_PKS5_iiSA_S6_PS5_21rocsparse_index_base_b.numbered_sgpr, 16
	.set _ZN9rocsparseL22gebsrmvn_mxn_16_kernelILj90ELj15ELj6E21rocsparse_complex_numIfEEEvi20rocsparse_direction_NS_24const_host_device_scalarIT2_EEPKiS8_PKS5_iiSA_S6_PS5_21rocsparse_index_base_b.num_named_barrier, 0
	.set _ZN9rocsparseL22gebsrmvn_mxn_16_kernelILj90ELj15ELj6E21rocsparse_complex_numIfEEEvi20rocsparse_direction_NS_24const_host_device_scalarIT2_EEPKiS8_PKS5_iiSA_S6_PS5_21rocsparse_index_base_b.private_seg_size, 0
	.set _ZN9rocsparseL22gebsrmvn_mxn_16_kernelILj90ELj15ELj6E21rocsparse_complex_numIfEEEvi20rocsparse_direction_NS_24const_host_device_scalarIT2_EEPKiS8_PKS5_iiSA_S6_PS5_21rocsparse_index_base_b.uses_vcc, 1
	.set _ZN9rocsparseL22gebsrmvn_mxn_16_kernelILj90ELj15ELj6E21rocsparse_complex_numIfEEEvi20rocsparse_direction_NS_24const_host_device_scalarIT2_EEPKiS8_PKS5_iiSA_S6_PS5_21rocsparse_index_base_b.uses_flat_scratch, 1
	.set _ZN9rocsparseL22gebsrmvn_mxn_16_kernelILj90ELj15ELj6E21rocsparse_complex_numIfEEEvi20rocsparse_direction_NS_24const_host_device_scalarIT2_EEPKiS8_PKS5_iiSA_S6_PS5_21rocsparse_index_base_b.has_dyn_sized_stack, 0
	.set _ZN9rocsparseL22gebsrmvn_mxn_16_kernelILj90ELj15ELj6E21rocsparse_complex_numIfEEEvi20rocsparse_direction_NS_24const_host_device_scalarIT2_EEPKiS8_PKS5_iiSA_S6_PS5_21rocsparse_index_base_b.has_recursion, 0
	.set _ZN9rocsparseL22gebsrmvn_mxn_16_kernelILj90ELj15ELj6E21rocsparse_complex_numIfEEEvi20rocsparse_direction_NS_24const_host_device_scalarIT2_EEPKiS8_PKS5_iiSA_S6_PS5_21rocsparse_index_base_b.has_indirect_call, 0
	.section	.AMDGPU.csdata,"",@progbits
; Kernel info:
; codeLenInByte = 1252
; TotalNumSgprs: 18
; NumVgprs: 16
; ScratchSize: 0
; MemoryBound: 0
; FloatMode: 240
; IeeeMode: 1
; LDSByteSize: 720 bytes/workgroup (compile time only)
; SGPRBlocks: 0
; VGPRBlocks: 0
; NumSGPRsForWavesPerEU: 18
; NumVGPRsForWavesPerEU: 16
; NamedBarCnt: 0
; Occupancy: 16
; WaveLimiterHint : 1
; COMPUTE_PGM_RSRC2:SCRATCH_EN: 0
; COMPUTE_PGM_RSRC2:USER_SGPR: 2
; COMPUTE_PGM_RSRC2:TRAP_HANDLER: 0
; COMPUTE_PGM_RSRC2:TGID_X_EN: 1
; COMPUTE_PGM_RSRC2:TGID_Y_EN: 0
; COMPUTE_PGM_RSRC2:TGID_Z_EN: 0
; COMPUTE_PGM_RSRC2:TIDIG_COMP_CNT: 0
	.section	.text._ZN9rocsparseL22gebsrmvn_mxn_16_kernelILj105ELj15ELj7E21rocsparse_complex_numIfEEEvi20rocsparse_direction_NS_24const_host_device_scalarIT2_EEPKiS8_PKS5_iiSA_S6_PS5_21rocsparse_index_base_b,"axG",@progbits,_ZN9rocsparseL22gebsrmvn_mxn_16_kernelILj105ELj15ELj7E21rocsparse_complex_numIfEEEvi20rocsparse_direction_NS_24const_host_device_scalarIT2_EEPKiS8_PKS5_iiSA_S6_PS5_21rocsparse_index_base_b,comdat
	.globl	_ZN9rocsparseL22gebsrmvn_mxn_16_kernelILj105ELj15ELj7E21rocsparse_complex_numIfEEEvi20rocsparse_direction_NS_24const_host_device_scalarIT2_EEPKiS8_PKS5_iiSA_S6_PS5_21rocsparse_index_base_b ; -- Begin function _ZN9rocsparseL22gebsrmvn_mxn_16_kernelILj105ELj15ELj7E21rocsparse_complex_numIfEEEvi20rocsparse_direction_NS_24const_host_device_scalarIT2_EEPKiS8_PKS5_iiSA_S6_PS5_21rocsparse_index_base_b
	.p2align	8
	.type	_ZN9rocsparseL22gebsrmvn_mxn_16_kernelILj105ELj15ELj7E21rocsparse_complex_numIfEEEvi20rocsparse_direction_NS_24const_host_device_scalarIT2_EEPKiS8_PKS5_iiSA_S6_PS5_21rocsparse_index_base_b,@function
_ZN9rocsparseL22gebsrmvn_mxn_16_kernelILj105ELj15ELj7E21rocsparse_complex_numIfEEEvi20rocsparse_direction_NS_24const_host_device_scalarIT2_EEPKiS8_PKS5_iiSA_S6_PS5_21rocsparse_index_base_b: ; @_ZN9rocsparseL22gebsrmvn_mxn_16_kernelILj105ELj15ELj7E21rocsparse_complex_numIfEEEvi20rocsparse_direction_NS_24const_host_device_scalarIT2_EEPKiS8_PKS5_iiSA_S6_PS5_21rocsparse_index_base_b
; %bb.0:
	s_clause 0x2
	s_load_b64 s[10:11], s[0:1], 0x48
	s_load_b64 s[2:3], s[0:1], 0x8
	s_load_b64 s[4:5], s[0:1], 0x38
	v_mov_b32_e32 v1, 0
	s_add_nc_u64 s[6:7], s[0:1], 8
	s_add_nc_u64 s[8:9], s[0:1], 56
	s_wait_kmcnt 0x0
	s_bitcmp1_b32 s11, 0
	s_cselect_b32 s3, s7, s3
	s_cselect_b32 s2, s6, s2
	;; [unrolled: 1-line block ×4, first 2 shown]
	s_clause 0x1
	flat_load_b64 v[2:3], v1, s[2:3]
	flat_load_b64 v[4:5], v1, s[4:5]
	s_wait_loadcnt_dscnt 0x101
	v_cmp_eq_f32_e32 vcc_lo, 0, v2
	v_cmp_eq_f32_e64 s2, 0, v3
	s_wait_loadcnt_dscnt 0x0
	v_cmp_eq_f32_e64 s3, 1.0, v4
	v_cmp_eq_f32_e64 s4, 0, v5
	s_and_b32 s2, vcc_lo, s2
	s_and_b32 s3, s3, s4
	s_delay_alu instid0(SALU_CYCLE_1) | instskip(NEXT) | instid1(SALU_CYCLE_1)
	s_and_b32 s2, s2, s3
	s_xor_b32 s2, s2, -1
	s_delay_alu instid0(SALU_CYCLE_1)
	s_and_saveexec_b32 s3, s2
	s_cbranch_execz .LBB92_34
; %bb.1:
	v_mul_u32_u24_e32 v1, 0x2493, v0
	s_clause 0x1
	s_load_b32 s4, s[0:1], 0x4
	s_load_b64 s[2:3], s[0:1], 0x10
	v_and_b32_e32 v6, 0xffff, v0
	v_lshrrev_b32_e32 v1, 16, v1
	s_delay_alu instid0(VALU_DEP_1) | instskip(NEXT) | instid1(VALU_DEP_1)
	v_mul_lo_u16 v1, v1, 7
	v_sub_nc_u16 v1, v0, v1
	s_delay_alu instid0(VALU_DEP_1) | instskip(SKIP_3) | instid1(SALU_CYCLE_1)
	v_and_b32_e32 v8, 0xffff, v1
	s_wait_kmcnt 0x0
	s_cmp_lg_u32 s4, 1
	s_cselect_b32 s11, -1, 0
	s_and_b32 vcc_lo, exec_lo, s11
	v_mov_b32_e32 v1, v8
	s_cbranch_vccnz .LBB92_3
; %bb.2:
	v_mul_u32_u24_e32 v1, 0x1112, v6
	s_delay_alu instid0(VALU_DEP_1) | instskip(NEXT) | instid1(VALU_DEP_1)
	v_lshrrev_b32_e32 v1, 16, v1
	v_mul_lo_u16 v7, v1, 37
	s_delay_alu instid0(VALU_DEP_1) | instskip(NEXT) | instid1(VALU_DEP_1)
	v_lshrrev_b16 v7, 8, v7
	v_mul_lo_u16 v7, v7, 7
	s_delay_alu instid0(VALU_DEP_1) | instskip(NEXT) | instid1(VALU_DEP_1)
	v_sub_nc_u16 v1, v1, v7
	v_and_b32_e32 v1, 0xff, v1
.LBB92_3:
	s_bfe_u32 s4, ttmp6, 0x4000c
	s_and_b32 s5, ttmp6, 15
	s_add_co_i32 s4, s4, 1
	s_getreg_b32 s6, hwreg(HW_REG_IB_STS2, 6, 4)
	s_mul_i32 s4, ttmp9, s4
	s_delay_alu instid0(SALU_CYCLE_1) | instskip(SKIP_2) | instid1(SALU_CYCLE_1)
	s_add_co_i32 s5, s5, s4
	s_cmp_eq_u32 s6, 0
	s_cselect_b32 s8, ttmp9, s5
	s_ashr_i32 s9, s8, 31
	s_delay_alu instid0(SALU_CYCLE_1) | instskip(NEXT) | instid1(SALU_CYCLE_1)
	s_lshl_b64 s[4:5], s[8:9], 2
	s_add_nc_u64 s[4:5], s[2:3], s[4:5]
	s_load_b64 s[14:15], s[4:5], 0x0
	s_load_b64 s[2:3], s[0:1], 0x40
	s_wait_kmcnt 0x0
	s_cmp_ge_i32 s14, s15
	s_cbranch_scc1 .LBB92_8
; %bb.4:
	s_clause 0x1
	s_load_b128 s[4:7], s[0:1], 0x18
	s_load_b64 s[12:13], s[0:1], 0x30
	v_mad_u32 v10, 0x69, s14, v0
	v_mul_u32_u24_e32 v9, 0x271, v6
	s_wait_xcnt 0x0
	s_mul_i32 s0, s10, 0x69
	v_mov_b64_e32 v[6:7], 0
	s_sub_co_i32 s1, s14, s10
	v_lshrrev_b32_e32 v9, 16, v9
	s_delay_alu instid0(VALU_DEP_4)
	v_subrev_nc_u32_e32 v10, s0, v10
	s_sub_co_i32 s0, s15, s10
	s_branch .LBB92_6
.LBB92_5:                               ;   in Loop: Header=BB92_6 Depth=1
	s_or_b32 exec_lo, exec_lo, s9
	v_add_nc_u32_e32 v10, 0x69, v10
	s_add_co_i32 s1, s1, 1
	s_delay_alu instid0(SALU_CYCLE_1)
	s_cmp_ge_i32 s1, s0
	s_cbranch_scc1 .LBB92_9
.LBB92_6:                               ; =>This Inner Loop Header: Depth=1
	s_delay_alu instid0(VALU_DEP_2) | instskip(SKIP_1) | instid1(VALU_DEP_1)
	v_add_nc_u32_e32 v11, s1, v9
	s_mov_b32 s9, exec_lo
	v_cmpx_gt_i32_e64 s0, v11
	s_cbranch_execz .LBB92_5
; %bb.7:                                ;   in Loop: Header=BB92_6 Depth=1
	s_wait_kmcnt 0x0
	global_load_b32 v11, v11, s[4:5] scale_offset
	s_wait_loadcnt 0x0
	v_subrev_nc_u32_e32 v11, s10, v11
	s_delay_alu instid0(VALU_DEP_1) | instskip(SKIP_4) | instid1(VALU_DEP_1)
	v_mad_u32 v11, v11, 7, v1
	global_load_b64 v[12:13], v11, s[12:13] scale_offset
	global_load_b64 v[14:15], v10, s[6:7] scale_offset
	s_wait_loadcnt 0x0
	v_pk_fma_f32 v[6:7], v[14:15], v[12:13], v[6:7] op_sel_hi:[1,0,1]
	v_pk_fma_f32 v[6:7], v[14:15], v[12:13], v[6:7] op_sel:[1,1,0] op_sel_hi:[0,1,1] neg_lo:[1,0,0]
	s_branch .LBB92_5
.LBB92_8:
	v_mov_b64_e32 v[6:7], 0
.LBB92_9:
	v_lshlrev_b32_e32 v1, 3, v0
	s_and_b32 vcc_lo, exec_lo, s11
	ds_store_b64 v1, v[6:7]
	s_wait_dscnt 0x0
	s_barrier_signal -1
	s_barrier_wait -1
	s_cbranch_vccz .LBB92_19
; %bb.10:
	s_mov_b32 s0, exec_lo
	v_cmpx_gt_u16_e32 3, v8
	s_cbranch_execz .LBB92_12
; %bb.11:
	ds_load_2addr_b64 v[10:13], v1 offset1:4
	s_wait_dscnt 0x0
	v_pk_add_f32 v[10:11], v[12:13], v[10:11]
	ds_store_b64 v1, v[10:11]
.LBB92_12:
	s_or_b32 exec_lo, exec_lo, s0
	s_delay_alu instid0(SALU_CYCLE_1)
	s_mov_b32 s0, exec_lo
	s_wait_dscnt 0x0
	s_barrier_signal -1
	s_barrier_wait -1
	v_cmpx_gt_u16_e32 2, v8
	s_cbranch_execz .LBB92_14
; %bb.13:
	ds_load_2addr_b64 v[10:13], v1 offset1:2
	s_wait_dscnt 0x0
	v_pk_add_f32 v[10:11], v[12:13], v[10:11]
	ds_store_b64 v1, v[10:11]
.LBB92_14:
	s_or_b32 exec_lo, exec_lo, s0
	s_delay_alu instid0(SALU_CYCLE_1)
	s_mov_b32 s0, exec_lo
	s_wait_dscnt 0x0
	s_barrier_signal -1
	s_barrier_wait -1
	v_cmpx_eq_u16_e32 0, v8
	s_cbranch_execz .LBB92_16
; %bb.15:
	ds_load_2addr_b64 v[8:11], v1 offset1:1
	s_wait_dscnt 0x0
	v_pk_add_f32 v[8:9], v[10:11], v[8:9]
	ds_store_b64 v1, v[8:9]
.LBB92_16:
	s_or_b32 exec_lo, exec_lo, s0
	v_mov_b64_e32 v[8:9], v[6:7]
	s_mov_b32 s0, exec_lo
	s_wait_dscnt 0x0
	s_barrier_signal -1
	s_barrier_wait -1
	v_cmpx_gt_u32_e32 15, v0
; %bb.17:
	v_mad_u32_u24 v8, v0, 48, v1
	ds_load_b64 v[8:9], v8
; %bb.18:
	s_or_b32 exec_lo, exec_lo, s0
	s_branch .LBB92_29
.LBB92_19:
                                        ; implicit-def: $vgpr8_vgpr9
	s_cbranch_execz .LBB92_29
; %bb.20:
	s_mov_b32 s0, exec_lo
	v_cmpx_gt_u32_e32 45, v0
	s_cbranch_execz .LBB92_22
; %bb.21:
	s_wait_dscnt 0x0
	ds_load_2addr_b64 v[8:11], v1 offset1:60
	s_wait_dscnt 0x0
	v_pk_add_f32 v[8:9], v[10:11], v[8:9]
	ds_store_b64 v1, v[8:9]
.LBB92_22:
	s_or_b32 exec_lo, exec_lo, s0
	s_delay_alu instid0(SALU_CYCLE_1)
	s_mov_b32 s0, exec_lo
	s_wait_dscnt 0x0
	s_barrier_signal -1
	s_barrier_wait -1
	v_cmpx_gt_u32_e32 30, v0
	s_cbranch_execz .LBB92_24
; %bb.23:
	ds_load_2addr_b64 v[8:11], v1 offset1:30
	s_wait_dscnt 0x0
	v_pk_add_f32 v[8:9], v[10:11], v[8:9]
	ds_store_b64 v1, v[8:9]
.LBB92_24:
	s_or_b32 exec_lo, exec_lo, s0
	s_delay_alu instid0(SALU_CYCLE_1)
	s_mov_b32 s0, exec_lo
	s_wait_dscnt 0x0
	v_cmpx_lt_u32_e32 14, v0
	s_xor_b32 s0, exec_lo, s0
; %bb.25:
                                        ; implicit-def: $vgpr1
; %bb.26:
	s_delay_alu instid0(SALU_CYCLE_1)
	s_and_not1_saveexec_b32 s0, s0
	s_cbranch_execz .LBB92_28
; %bb.27:
	ds_load_2addr_b64 v[6:9], v1 offset1:15
	s_wait_dscnt 0x0
	v_pk_add_f32 v[6:7], v[8:9], v[6:7]
	ds_store_b64 v1, v[6:7]
	s_wait_dscnt 0x0
	ds_load_b64 v[6:7], v1
.LBB92_28:
	s_or_b32 exec_lo, exec_lo, s0
	s_wait_dscnt 0x0
	v_mov_b64_e32 v[8:9], v[6:7]
.LBB92_29:
	v_cmp_gt_u32_e32 vcc_lo, 15, v0
	s_and_b32 exec_lo, exec_lo, vcc_lo
	s_cbranch_execz .LBB92_34
; %bb.30:
	v_mad_u32 v6, s8, 15, v0
	v_cmp_eq_f32_e32 vcc_lo, 0, v4
	v_cmp_eq_f32_e64 s0, 0, v5
	v_xor_b32_e32 v0, 0x80000000, v3
	s_and_b32 s0, vcc_lo, s0
	s_delay_alu instid0(SALU_CYCLE_1) | instskip(NEXT) | instid1(SALU_CYCLE_1)
	s_and_saveexec_b32 s1, s0
	s_xor_b32 s0, exec_lo, s1
	s_cbranch_execz .LBB92_32
; %bb.31:
	v_mov_b32_e32 v1, v2
                                        ; implicit-def: $vgpr4_vgpr5
	s_wait_dscnt 0x0
	s_delay_alu instid0(VALU_DEP_1) | instskip(NEXT) | instid1(VALU_DEP_1)
	v_pk_mul_f32 v[0:1], v[8:9], v[0:1] op_sel:[1,0]
	v_pk_fma_f32 v[0:1], v[2:3], v[8:9], v[0:1] op_sel_hi:[1,0,1]
                                        ; implicit-def: $vgpr2_vgpr3
                                        ; implicit-def: $vgpr8_vgpr9
	global_store_b64 v6, v[0:1], s[2:3] scale_offset
                                        ; implicit-def: $vgpr6
                                        ; implicit-def: $vgpr0
.LBB92_32:
	s_wait_xcnt 0x0
	s_and_not1_saveexec_b32 s0, s0
	s_cbranch_execz .LBB92_34
; %bb.33:
	global_load_b64 v[10:11], v6, s[2:3] scale_offset
	v_mov_b32_e32 v1, v2
	s_wait_dscnt 0x0
	s_delay_alu instid0(VALU_DEP_1) | instskip(NEXT) | instid1(VALU_DEP_1)
	v_pk_mul_f32 v[0:1], v[8:9], v[0:1] op_sel:[1,0]
	v_pk_fma_f32 v[0:1], v[2:3], v[8:9], v[0:1] op_sel_hi:[1,0,1]
	v_xor_b32_e32 v2, 0x80000000, v5
	v_mov_b32_e32 v3, v4
	s_wait_loadcnt 0x0
	s_delay_alu instid0(VALU_DEP_3) | instskip(NEXT) | instid1(VALU_DEP_1)
	v_pk_fma_f32 v[0:1], v[4:5], v[10:11], v[0:1] op_sel_hi:[1,0,1]
	v_pk_fma_f32 v[0:1], v[2:3], v[10:11], v[0:1] op_sel:[0,1,0]
	global_store_b64 v6, v[0:1], s[2:3] scale_offset
.LBB92_34:
	s_endpgm
	.section	.rodata,"a",@progbits
	.p2align	6, 0x0
	.amdhsa_kernel _ZN9rocsparseL22gebsrmvn_mxn_16_kernelILj105ELj15ELj7E21rocsparse_complex_numIfEEEvi20rocsparse_direction_NS_24const_host_device_scalarIT2_EEPKiS8_PKS5_iiSA_S6_PS5_21rocsparse_index_base_b
		.amdhsa_group_segment_fixed_size 840
		.amdhsa_private_segment_fixed_size 0
		.amdhsa_kernarg_size 80
		.amdhsa_user_sgpr_count 2
		.amdhsa_user_sgpr_dispatch_ptr 0
		.amdhsa_user_sgpr_queue_ptr 0
		.amdhsa_user_sgpr_kernarg_segment_ptr 1
		.amdhsa_user_sgpr_dispatch_id 0
		.amdhsa_user_sgpr_kernarg_preload_length 0
		.amdhsa_user_sgpr_kernarg_preload_offset 0
		.amdhsa_user_sgpr_private_segment_size 0
		.amdhsa_wavefront_size32 1
		.amdhsa_uses_dynamic_stack 0
		.amdhsa_enable_private_segment 0
		.amdhsa_system_sgpr_workgroup_id_x 1
		.amdhsa_system_sgpr_workgroup_id_y 0
		.amdhsa_system_sgpr_workgroup_id_z 0
		.amdhsa_system_sgpr_workgroup_info 0
		.amdhsa_system_vgpr_workitem_id 0
		.amdhsa_next_free_vgpr 16
		.amdhsa_next_free_sgpr 16
		.amdhsa_named_barrier_count 0
		.amdhsa_reserve_vcc 1
		.amdhsa_float_round_mode_32 0
		.amdhsa_float_round_mode_16_64 0
		.amdhsa_float_denorm_mode_32 3
		.amdhsa_float_denorm_mode_16_64 3
		.amdhsa_fp16_overflow 0
		.amdhsa_memory_ordered 1
		.amdhsa_forward_progress 1
		.amdhsa_inst_pref_size 10
		.amdhsa_round_robin_scheduling 0
		.amdhsa_exception_fp_ieee_invalid_op 0
		.amdhsa_exception_fp_denorm_src 0
		.amdhsa_exception_fp_ieee_div_zero 0
		.amdhsa_exception_fp_ieee_overflow 0
		.amdhsa_exception_fp_ieee_underflow 0
		.amdhsa_exception_fp_ieee_inexact 0
		.amdhsa_exception_int_div_zero 0
	.end_amdhsa_kernel
	.section	.text._ZN9rocsparseL22gebsrmvn_mxn_16_kernelILj105ELj15ELj7E21rocsparse_complex_numIfEEEvi20rocsparse_direction_NS_24const_host_device_scalarIT2_EEPKiS8_PKS5_iiSA_S6_PS5_21rocsparse_index_base_b,"axG",@progbits,_ZN9rocsparseL22gebsrmvn_mxn_16_kernelILj105ELj15ELj7E21rocsparse_complex_numIfEEEvi20rocsparse_direction_NS_24const_host_device_scalarIT2_EEPKiS8_PKS5_iiSA_S6_PS5_21rocsparse_index_base_b,comdat
.Lfunc_end92:
	.size	_ZN9rocsparseL22gebsrmvn_mxn_16_kernelILj105ELj15ELj7E21rocsparse_complex_numIfEEEvi20rocsparse_direction_NS_24const_host_device_scalarIT2_EEPKiS8_PKS5_iiSA_S6_PS5_21rocsparse_index_base_b, .Lfunc_end92-_ZN9rocsparseL22gebsrmvn_mxn_16_kernelILj105ELj15ELj7E21rocsparse_complex_numIfEEEvi20rocsparse_direction_NS_24const_host_device_scalarIT2_EEPKiS8_PKS5_iiSA_S6_PS5_21rocsparse_index_base_b
                                        ; -- End function
	.set _ZN9rocsparseL22gebsrmvn_mxn_16_kernelILj105ELj15ELj7E21rocsparse_complex_numIfEEEvi20rocsparse_direction_NS_24const_host_device_scalarIT2_EEPKiS8_PKS5_iiSA_S6_PS5_21rocsparse_index_base_b.num_vgpr, 16
	.set _ZN9rocsparseL22gebsrmvn_mxn_16_kernelILj105ELj15ELj7E21rocsparse_complex_numIfEEEvi20rocsparse_direction_NS_24const_host_device_scalarIT2_EEPKiS8_PKS5_iiSA_S6_PS5_21rocsparse_index_base_b.num_agpr, 0
	.set _ZN9rocsparseL22gebsrmvn_mxn_16_kernelILj105ELj15ELj7E21rocsparse_complex_numIfEEEvi20rocsparse_direction_NS_24const_host_device_scalarIT2_EEPKiS8_PKS5_iiSA_S6_PS5_21rocsparse_index_base_b.numbered_sgpr, 16
	.set _ZN9rocsparseL22gebsrmvn_mxn_16_kernelILj105ELj15ELj7E21rocsparse_complex_numIfEEEvi20rocsparse_direction_NS_24const_host_device_scalarIT2_EEPKiS8_PKS5_iiSA_S6_PS5_21rocsparse_index_base_b.num_named_barrier, 0
	.set _ZN9rocsparseL22gebsrmvn_mxn_16_kernelILj105ELj15ELj7E21rocsparse_complex_numIfEEEvi20rocsparse_direction_NS_24const_host_device_scalarIT2_EEPKiS8_PKS5_iiSA_S6_PS5_21rocsparse_index_base_b.private_seg_size, 0
	.set _ZN9rocsparseL22gebsrmvn_mxn_16_kernelILj105ELj15ELj7E21rocsparse_complex_numIfEEEvi20rocsparse_direction_NS_24const_host_device_scalarIT2_EEPKiS8_PKS5_iiSA_S6_PS5_21rocsparse_index_base_b.uses_vcc, 1
	.set _ZN9rocsparseL22gebsrmvn_mxn_16_kernelILj105ELj15ELj7E21rocsparse_complex_numIfEEEvi20rocsparse_direction_NS_24const_host_device_scalarIT2_EEPKiS8_PKS5_iiSA_S6_PS5_21rocsparse_index_base_b.uses_flat_scratch, 1
	.set _ZN9rocsparseL22gebsrmvn_mxn_16_kernelILj105ELj15ELj7E21rocsparse_complex_numIfEEEvi20rocsparse_direction_NS_24const_host_device_scalarIT2_EEPKiS8_PKS5_iiSA_S6_PS5_21rocsparse_index_base_b.has_dyn_sized_stack, 0
	.set _ZN9rocsparseL22gebsrmvn_mxn_16_kernelILj105ELj15ELj7E21rocsparse_complex_numIfEEEvi20rocsparse_direction_NS_24const_host_device_scalarIT2_EEPKiS8_PKS5_iiSA_S6_PS5_21rocsparse_index_base_b.has_recursion, 0
	.set _ZN9rocsparseL22gebsrmvn_mxn_16_kernelILj105ELj15ELj7E21rocsparse_complex_numIfEEEvi20rocsparse_direction_NS_24const_host_device_scalarIT2_EEPKiS8_PKS5_iiSA_S6_PS5_21rocsparse_index_base_b.has_indirect_call, 0
	.section	.AMDGPU.csdata,"",@progbits
; Kernel info:
; codeLenInByte = 1268
; TotalNumSgprs: 18
; NumVgprs: 16
; ScratchSize: 0
; MemoryBound: 0
; FloatMode: 240
; IeeeMode: 1
; LDSByteSize: 840 bytes/workgroup (compile time only)
; SGPRBlocks: 0
; VGPRBlocks: 0
; NumSGPRsForWavesPerEU: 18
; NumVGPRsForWavesPerEU: 16
; NamedBarCnt: 0
; Occupancy: 16
; WaveLimiterHint : 1
; COMPUTE_PGM_RSRC2:SCRATCH_EN: 0
; COMPUTE_PGM_RSRC2:USER_SGPR: 2
; COMPUTE_PGM_RSRC2:TRAP_HANDLER: 0
; COMPUTE_PGM_RSRC2:TGID_X_EN: 1
; COMPUTE_PGM_RSRC2:TGID_Y_EN: 0
; COMPUTE_PGM_RSRC2:TGID_Z_EN: 0
; COMPUTE_PGM_RSRC2:TIDIG_COMP_CNT: 0
	.section	.text._ZN9rocsparseL22gebsrmvn_mxn_16_kernelILj120ELj15ELj8E21rocsparse_complex_numIfEEEvi20rocsparse_direction_NS_24const_host_device_scalarIT2_EEPKiS8_PKS5_iiSA_S6_PS5_21rocsparse_index_base_b,"axG",@progbits,_ZN9rocsparseL22gebsrmvn_mxn_16_kernelILj120ELj15ELj8E21rocsparse_complex_numIfEEEvi20rocsparse_direction_NS_24const_host_device_scalarIT2_EEPKiS8_PKS5_iiSA_S6_PS5_21rocsparse_index_base_b,comdat
	.globl	_ZN9rocsparseL22gebsrmvn_mxn_16_kernelILj120ELj15ELj8E21rocsparse_complex_numIfEEEvi20rocsparse_direction_NS_24const_host_device_scalarIT2_EEPKiS8_PKS5_iiSA_S6_PS5_21rocsparse_index_base_b ; -- Begin function _ZN9rocsparseL22gebsrmvn_mxn_16_kernelILj120ELj15ELj8E21rocsparse_complex_numIfEEEvi20rocsparse_direction_NS_24const_host_device_scalarIT2_EEPKiS8_PKS5_iiSA_S6_PS5_21rocsparse_index_base_b
	.p2align	8
	.type	_ZN9rocsparseL22gebsrmvn_mxn_16_kernelILj120ELj15ELj8E21rocsparse_complex_numIfEEEvi20rocsparse_direction_NS_24const_host_device_scalarIT2_EEPKiS8_PKS5_iiSA_S6_PS5_21rocsparse_index_base_b,@function
_ZN9rocsparseL22gebsrmvn_mxn_16_kernelILj120ELj15ELj8E21rocsparse_complex_numIfEEEvi20rocsparse_direction_NS_24const_host_device_scalarIT2_EEPKiS8_PKS5_iiSA_S6_PS5_21rocsparse_index_base_b: ; @_ZN9rocsparseL22gebsrmvn_mxn_16_kernelILj120ELj15ELj8E21rocsparse_complex_numIfEEEvi20rocsparse_direction_NS_24const_host_device_scalarIT2_EEPKiS8_PKS5_iiSA_S6_PS5_21rocsparse_index_base_b
; %bb.0:
	s_clause 0x2
	s_load_b64 s[10:11], s[0:1], 0x48
	s_load_b64 s[2:3], s[0:1], 0x8
	;; [unrolled: 1-line block ×3, first 2 shown]
	v_mov_b32_e32 v1, 0
	s_add_nc_u64 s[6:7], s[0:1], 8
	s_add_nc_u64 s[8:9], s[0:1], 56
	s_wait_kmcnt 0x0
	s_bitcmp1_b32 s11, 0
	s_cselect_b32 s3, s7, s3
	s_cselect_b32 s2, s6, s2
	s_cselect_b32 s5, s9, s5
	s_cselect_b32 s4, s8, s4
	s_clause 0x1
	flat_load_b64 v[2:3], v1, s[2:3]
	flat_load_b64 v[4:5], v1, s[4:5]
	s_wait_loadcnt_dscnt 0x101
	v_cmp_eq_f32_e32 vcc_lo, 0, v2
	v_cmp_eq_f32_e64 s2, 0, v3
	s_wait_loadcnt_dscnt 0x0
	v_cmp_eq_f32_e64 s3, 1.0, v4
	v_cmp_eq_f32_e64 s4, 0, v5
	s_and_b32 s2, vcc_lo, s2
	s_and_b32 s3, s3, s4
	s_delay_alu instid0(SALU_CYCLE_1) | instskip(NEXT) | instid1(SALU_CYCLE_1)
	s_and_b32 s2, s2, s3
	s_xor_b32 s2, s2, -1
	s_delay_alu instid0(SALU_CYCLE_1)
	s_and_saveexec_b32 s3, s2
	s_cbranch_execz .LBB93_34
; %bb.1:
	s_clause 0x1
	s_load_b32 s4, s[0:1], 0x4
	s_load_b64 s[2:3], s[0:1], 0x10
	v_and_b32_e32 v8, 7, v0
	s_delay_alu instid0(VALU_DEP_1) | instskip(SKIP_3) | instid1(SALU_CYCLE_1)
	v_mov_b32_e32 v1, v8
	s_wait_kmcnt 0x0
	s_cmp_lg_u32 s4, 1
	s_cselect_b32 s11, -1, 0
	s_and_b32 vcc_lo, exec_lo, s11
	s_cbranch_vccnz .LBB93_3
; %bb.2:
	v_mul_u32_u24_e32 v1, 0x1112, v0
	s_delay_alu instid0(VALU_DEP_1)
	v_bfe_u32 v1, v1, 16, 3
.LBB93_3:
	s_bfe_u32 s4, ttmp6, 0x4000c
	s_and_b32 s5, ttmp6, 15
	s_add_co_i32 s4, s4, 1
	s_getreg_b32 s6, hwreg(HW_REG_IB_STS2, 6, 4)
	s_mul_i32 s4, ttmp9, s4
	s_delay_alu instid0(SALU_CYCLE_1) | instskip(SKIP_2) | instid1(SALU_CYCLE_1)
	s_add_co_i32 s5, s5, s4
	s_cmp_eq_u32 s6, 0
	s_cselect_b32 s8, ttmp9, s5
	s_ashr_i32 s9, s8, 31
	s_delay_alu instid0(SALU_CYCLE_1) | instskip(NEXT) | instid1(SALU_CYCLE_1)
	s_lshl_b64 s[4:5], s[8:9], 2
	s_add_nc_u64 s[4:5], s[2:3], s[4:5]
	s_load_b64 s[14:15], s[4:5], 0x0
	s_load_b64 s[2:3], s[0:1], 0x40
	s_wait_kmcnt 0x0
	s_cmp_ge_i32 s14, s15
	s_cbranch_scc1 .LBB93_8
; %bb.4:
	s_clause 0x1
	s_load_b128 s[4:7], s[0:1], 0x18
	s_load_b64 s[12:13], s[0:1], 0x30
	v_mad_u32 v10, 0x78, s14, v0
	v_mul_u32_u24_e32 v9, 0x223, v0
	s_wait_xcnt 0x0
	s_mul_i32 s0, s10, 0x78
	v_mov_b64_e32 v[6:7], 0
	s_sub_co_i32 s1, s14, s10
	v_lshrrev_b32_e32 v9, 16, v9
	s_delay_alu instid0(VALU_DEP_4)
	v_subrev_nc_u32_e32 v10, s0, v10
	s_sub_co_i32 s0, s15, s10
	s_branch .LBB93_6
.LBB93_5:                               ;   in Loop: Header=BB93_6 Depth=1
	s_or_b32 exec_lo, exec_lo, s9
	v_add_nc_u32_e32 v10, 0x78, v10
	s_add_co_i32 s1, s1, 1
	s_delay_alu instid0(SALU_CYCLE_1)
	s_cmp_ge_i32 s1, s0
	s_cbranch_scc1 .LBB93_9
.LBB93_6:                               ; =>This Inner Loop Header: Depth=1
	s_delay_alu instid0(VALU_DEP_2) | instskip(SKIP_1) | instid1(VALU_DEP_1)
	v_add_nc_u32_e32 v11, s1, v9
	s_mov_b32 s9, exec_lo
	v_cmpx_gt_i32_e64 s0, v11
	s_cbranch_execz .LBB93_5
; %bb.7:                                ;   in Loop: Header=BB93_6 Depth=1
	s_wait_kmcnt 0x0
	global_load_b32 v11, v11, s[4:5] scale_offset
	s_wait_loadcnt 0x0
	v_subrev_nc_u32_e32 v11, s10, v11
	s_delay_alu instid0(VALU_DEP_1) | instskip(SKIP_4) | instid1(VALU_DEP_1)
	v_lshl_or_b32 v11, v11, 3, v1
	global_load_b64 v[12:13], v11, s[12:13] scale_offset
	global_load_b64 v[14:15], v10, s[6:7] scale_offset
	s_wait_loadcnt 0x0
	v_pk_fma_f32 v[6:7], v[14:15], v[12:13], v[6:7] op_sel_hi:[1,0,1]
	v_pk_fma_f32 v[6:7], v[14:15], v[12:13], v[6:7] op_sel:[1,1,0] op_sel_hi:[0,1,1] neg_lo:[1,0,0]
	s_branch .LBB93_5
.LBB93_8:
	v_mov_b64_e32 v[6:7], 0
.LBB93_9:
	v_lshlrev_b32_e32 v1, 3, v0
	s_and_b32 vcc_lo, exec_lo, s11
	ds_store_b64 v1, v[6:7]
	s_wait_dscnt 0x0
	s_barrier_signal -1
	s_barrier_wait -1
	s_cbranch_vccz .LBB93_19
; %bb.10:
	s_mov_b32 s0, exec_lo
	v_cmpx_gt_u32_e32 4, v8
	s_cbranch_execz .LBB93_12
; %bb.11:
	ds_load_2addr_b64 v[10:13], v1 offset1:4
	s_wait_dscnt 0x0
	v_pk_add_f32 v[10:11], v[12:13], v[10:11]
	ds_store_b64 v1, v[10:11]
.LBB93_12:
	s_or_b32 exec_lo, exec_lo, s0
	s_delay_alu instid0(SALU_CYCLE_1)
	s_mov_b32 s0, exec_lo
	s_wait_dscnt 0x0
	s_barrier_signal -1
	s_barrier_wait -1
	v_cmpx_gt_u32_e32 2, v8
	s_cbranch_execz .LBB93_14
; %bb.13:
	ds_load_2addr_b64 v[10:13], v1 offset1:2
	s_wait_dscnt 0x0
	v_pk_add_f32 v[10:11], v[12:13], v[10:11]
	ds_store_b64 v1, v[10:11]
.LBB93_14:
	s_or_b32 exec_lo, exec_lo, s0
	s_delay_alu instid0(SALU_CYCLE_1)
	s_mov_b32 s0, exec_lo
	s_wait_dscnt 0x0
	s_barrier_signal -1
	s_barrier_wait -1
	v_cmpx_eq_u32_e32 0, v8
	s_cbranch_execz .LBB93_16
; %bb.15:
	ds_load_2addr_b64 v[8:11], v1 offset1:1
	s_wait_dscnt 0x0
	v_pk_add_f32 v[8:9], v[10:11], v[8:9]
	ds_store_b64 v1, v[8:9]
.LBB93_16:
	s_or_b32 exec_lo, exec_lo, s0
	v_mov_b64_e32 v[8:9], v[6:7]
	s_mov_b32 s0, exec_lo
	s_wait_dscnt 0x0
	s_barrier_signal -1
	s_barrier_wait -1
	v_cmpx_gt_u32_e32 15, v0
; %bb.17:
	v_mad_u32_u24 v8, v0, 56, v1
	ds_load_b64 v[8:9], v8
; %bb.18:
	s_or_b32 exec_lo, exec_lo, s0
	s_branch .LBB93_29
.LBB93_19:
                                        ; implicit-def: $vgpr8_vgpr9
	s_cbranch_execz .LBB93_29
; %bb.20:
	s_mov_b32 s0, exec_lo
	v_cmpx_gt_u32_e32 60, v0
	s_cbranch_execz .LBB93_22
; %bb.21:
	s_wait_dscnt 0x0
	ds_load_2addr_b64 v[8:11], v1 offset1:60
	s_wait_dscnt 0x0
	v_pk_add_f32 v[8:9], v[10:11], v[8:9]
	ds_store_b64 v1, v[8:9]
.LBB93_22:
	s_or_b32 exec_lo, exec_lo, s0
	s_delay_alu instid0(SALU_CYCLE_1)
	s_mov_b32 s0, exec_lo
	s_wait_dscnt 0x0
	s_barrier_signal -1
	s_barrier_wait -1
	v_cmpx_gt_u32_e32 30, v0
	s_cbranch_execz .LBB93_24
; %bb.23:
	ds_load_2addr_b64 v[8:11], v1 offset1:30
	s_wait_dscnt 0x0
	v_pk_add_f32 v[8:9], v[10:11], v[8:9]
	ds_store_b64 v1, v[8:9]
.LBB93_24:
	s_or_b32 exec_lo, exec_lo, s0
	s_delay_alu instid0(SALU_CYCLE_1)
	s_mov_b32 s0, exec_lo
	s_wait_dscnt 0x0
	v_cmpx_lt_u32_e32 14, v0
	s_xor_b32 s0, exec_lo, s0
; %bb.25:
                                        ; implicit-def: $vgpr1
; %bb.26:
	s_delay_alu instid0(SALU_CYCLE_1)
	s_and_not1_saveexec_b32 s0, s0
	s_cbranch_execz .LBB93_28
; %bb.27:
	ds_load_2addr_b64 v[6:9], v1 offset1:15
	s_wait_dscnt 0x0
	v_pk_add_f32 v[6:7], v[8:9], v[6:7]
	ds_store_b64 v1, v[6:7]
	s_wait_dscnt 0x0
	ds_load_b64 v[6:7], v1
.LBB93_28:
	s_or_b32 exec_lo, exec_lo, s0
	s_wait_dscnt 0x0
	v_mov_b64_e32 v[8:9], v[6:7]
.LBB93_29:
	v_cmp_gt_u32_e32 vcc_lo, 15, v0
	s_and_b32 exec_lo, exec_lo, vcc_lo
	s_cbranch_execz .LBB93_34
; %bb.30:
	v_mad_u32 v6, s8, 15, v0
	v_cmp_eq_f32_e32 vcc_lo, 0, v4
	v_cmp_eq_f32_e64 s0, 0, v5
	v_xor_b32_e32 v0, 0x80000000, v3
	s_and_b32 s0, vcc_lo, s0
	s_delay_alu instid0(SALU_CYCLE_1) | instskip(NEXT) | instid1(SALU_CYCLE_1)
	s_and_saveexec_b32 s1, s0
	s_xor_b32 s0, exec_lo, s1
	s_cbranch_execz .LBB93_32
; %bb.31:
	v_mov_b32_e32 v1, v2
                                        ; implicit-def: $vgpr4_vgpr5
	s_wait_dscnt 0x0
	s_delay_alu instid0(VALU_DEP_1) | instskip(NEXT) | instid1(VALU_DEP_1)
	v_pk_mul_f32 v[0:1], v[8:9], v[0:1] op_sel:[1,0]
	v_pk_fma_f32 v[0:1], v[2:3], v[8:9], v[0:1] op_sel_hi:[1,0,1]
                                        ; implicit-def: $vgpr2_vgpr3
                                        ; implicit-def: $vgpr8_vgpr9
	global_store_b64 v6, v[0:1], s[2:3] scale_offset
                                        ; implicit-def: $vgpr6
                                        ; implicit-def: $vgpr0
.LBB93_32:
	s_wait_xcnt 0x0
	s_and_not1_saveexec_b32 s0, s0
	s_cbranch_execz .LBB93_34
; %bb.33:
	global_load_b64 v[10:11], v6, s[2:3] scale_offset
	v_mov_b32_e32 v1, v2
	s_wait_dscnt 0x0
	s_delay_alu instid0(VALU_DEP_1) | instskip(NEXT) | instid1(VALU_DEP_1)
	v_pk_mul_f32 v[0:1], v[8:9], v[0:1] op_sel:[1,0]
	v_pk_fma_f32 v[0:1], v[2:3], v[8:9], v[0:1] op_sel_hi:[1,0,1]
	v_xor_b32_e32 v2, 0x80000000, v5
	v_mov_b32_e32 v3, v4
	s_wait_loadcnt 0x0
	s_delay_alu instid0(VALU_DEP_3) | instskip(NEXT) | instid1(VALU_DEP_1)
	v_pk_fma_f32 v[0:1], v[4:5], v[10:11], v[0:1] op_sel_hi:[1,0,1]
	v_pk_fma_f32 v[0:1], v[2:3], v[10:11], v[0:1] op_sel:[0,1,0]
	global_store_b64 v6, v[0:1], s[2:3] scale_offset
.LBB93_34:
	s_endpgm
	.section	.rodata,"a",@progbits
	.p2align	6, 0x0
	.amdhsa_kernel _ZN9rocsparseL22gebsrmvn_mxn_16_kernelILj120ELj15ELj8E21rocsparse_complex_numIfEEEvi20rocsparse_direction_NS_24const_host_device_scalarIT2_EEPKiS8_PKS5_iiSA_S6_PS5_21rocsparse_index_base_b
		.amdhsa_group_segment_fixed_size 960
		.amdhsa_private_segment_fixed_size 0
		.amdhsa_kernarg_size 80
		.amdhsa_user_sgpr_count 2
		.amdhsa_user_sgpr_dispatch_ptr 0
		.amdhsa_user_sgpr_queue_ptr 0
		.amdhsa_user_sgpr_kernarg_segment_ptr 1
		.amdhsa_user_sgpr_dispatch_id 0
		.amdhsa_user_sgpr_kernarg_preload_length 0
		.amdhsa_user_sgpr_kernarg_preload_offset 0
		.amdhsa_user_sgpr_private_segment_size 0
		.amdhsa_wavefront_size32 1
		.amdhsa_uses_dynamic_stack 0
		.amdhsa_enable_private_segment 0
		.amdhsa_system_sgpr_workgroup_id_x 1
		.amdhsa_system_sgpr_workgroup_id_y 0
		.amdhsa_system_sgpr_workgroup_id_z 0
		.amdhsa_system_sgpr_workgroup_info 0
		.amdhsa_system_vgpr_workitem_id 0
		.amdhsa_next_free_vgpr 16
		.amdhsa_next_free_sgpr 16
		.amdhsa_named_barrier_count 0
		.amdhsa_reserve_vcc 1
		.amdhsa_float_round_mode_32 0
		.amdhsa_float_round_mode_16_64 0
		.amdhsa_float_denorm_mode_32 3
		.amdhsa_float_denorm_mode_16_64 3
		.amdhsa_fp16_overflow 0
		.amdhsa_memory_ordered 1
		.amdhsa_forward_progress 1
		.amdhsa_inst_pref_size 10
		.amdhsa_round_robin_scheduling 0
		.amdhsa_exception_fp_ieee_invalid_op 0
		.amdhsa_exception_fp_denorm_src 0
		.amdhsa_exception_fp_ieee_div_zero 0
		.amdhsa_exception_fp_ieee_overflow 0
		.amdhsa_exception_fp_ieee_underflow 0
		.amdhsa_exception_fp_ieee_inexact 0
		.amdhsa_exception_int_div_zero 0
	.end_amdhsa_kernel
	.section	.text._ZN9rocsparseL22gebsrmvn_mxn_16_kernelILj120ELj15ELj8E21rocsparse_complex_numIfEEEvi20rocsparse_direction_NS_24const_host_device_scalarIT2_EEPKiS8_PKS5_iiSA_S6_PS5_21rocsparse_index_base_b,"axG",@progbits,_ZN9rocsparseL22gebsrmvn_mxn_16_kernelILj120ELj15ELj8E21rocsparse_complex_numIfEEEvi20rocsparse_direction_NS_24const_host_device_scalarIT2_EEPKiS8_PKS5_iiSA_S6_PS5_21rocsparse_index_base_b,comdat
.Lfunc_end93:
	.size	_ZN9rocsparseL22gebsrmvn_mxn_16_kernelILj120ELj15ELj8E21rocsparse_complex_numIfEEEvi20rocsparse_direction_NS_24const_host_device_scalarIT2_EEPKiS8_PKS5_iiSA_S6_PS5_21rocsparse_index_base_b, .Lfunc_end93-_ZN9rocsparseL22gebsrmvn_mxn_16_kernelILj120ELj15ELj8E21rocsparse_complex_numIfEEEvi20rocsparse_direction_NS_24const_host_device_scalarIT2_EEPKiS8_PKS5_iiSA_S6_PS5_21rocsparse_index_base_b
                                        ; -- End function
	.set _ZN9rocsparseL22gebsrmvn_mxn_16_kernelILj120ELj15ELj8E21rocsparse_complex_numIfEEEvi20rocsparse_direction_NS_24const_host_device_scalarIT2_EEPKiS8_PKS5_iiSA_S6_PS5_21rocsparse_index_base_b.num_vgpr, 16
	.set _ZN9rocsparseL22gebsrmvn_mxn_16_kernelILj120ELj15ELj8E21rocsparse_complex_numIfEEEvi20rocsparse_direction_NS_24const_host_device_scalarIT2_EEPKiS8_PKS5_iiSA_S6_PS5_21rocsparse_index_base_b.num_agpr, 0
	.set _ZN9rocsparseL22gebsrmvn_mxn_16_kernelILj120ELj15ELj8E21rocsparse_complex_numIfEEEvi20rocsparse_direction_NS_24const_host_device_scalarIT2_EEPKiS8_PKS5_iiSA_S6_PS5_21rocsparse_index_base_b.numbered_sgpr, 16
	.set _ZN9rocsparseL22gebsrmvn_mxn_16_kernelILj120ELj15ELj8E21rocsparse_complex_numIfEEEvi20rocsparse_direction_NS_24const_host_device_scalarIT2_EEPKiS8_PKS5_iiSA_S6_PS5_21rocsparse_index_base_b.num_named_barrier, 0
	.set _ZN9rocsparseL22gebsrmvn_mxn_16_kernelILj120ELj15ELj8E21rocsparse_complex_numIfEEEvi20rocsparse_direction_NS_24const_host_device_scalarIT2_EEPKiS8_PKS5_iiSA_S6_PS5_21rocsparse_index_base_b.private_seg_size, 0
	.set _ZN9rocsparseL22gebsrmvn_mxn_16_kernelILj120ELj15ELj8E21rocsparse_complex_numIfEEEvi20rocsparse_direction_NS_24const_host_device_scalarIT2_EEPKiS8_PKS5_iiSA_S6_PS5_21rocsparse_index_base_b.uses_vcc, 1
	.set _ZN9rocsparseL22gebsrmvn_mxn_16_kernelILj120ELj15ELj8E21rocsparse_complex_numIfEEEvi20rocsparse_direction_NS_24const_host_device_scalarIT2_EEPKiS8_PKS5_iiSA_S6_PS5_21rocsparse_index_base_b.uses_flat_scratch, 1
	.set _ZN9rocsparseL22gebsrmvn_mxn_16_kernelILj120ELj15ELj8E21rocsparse_complex_numIfEEEvi20rocsparse_direction_NS_24const_host_device_scalarIT2_EEPKiS8_PKS5_iiSA_S6_PS5_21rocsparse_index_base_b.has_dyn_sized_stack, 0
	.set _ZN9rocsparseL22gebsrmvn_mxn_16_kernelILj120ELj15ELj8E21rocsparse_complex_numIfEEEvi20rocsparse_direction_NS_24const_host_device_scalarIT2_EEPKiS8_PKS5_iiSA_S6_PS5_21rocsparse_index_base_b.has_recursion, 0
	.set _ZN9rocsparseL22gebsrmvn_mxn_16_kernelILj120ELj15ELj8E21rocsparse_complex_numIfEEEvi20rocsparse_direction_NS_24const_host_device_scalarIT2_EEPKiS8_PKS5_iiSA_S6_PS5_21rocsparse_index_base_b.has_indirect_call, 0
	.section	.AMDGPU.csdata,"",@progbits
; Kernel info:
; codeLenInByte = 1180
; TotalNumSgprs: 18
; NumVgprs: 16
; ScratchSize: 0
; MemoryBound: 0
; FloatMode: 240
; IeeeMode: 1
; LDSByteSize: 960 bytes/workgroup (compile time only)
; SGPRBlocks: 0
; VGPRBlocks: 0
; NumSGPRsForWavesPerEU: 18
; NumVGPRsForWavesPerEU: 16
; NamedBarCnt: 0
; Occupancy: 16
; WaveLimiterHint : 1
; COMPUTE_PGM_RSRC2:SCRATCH_EN: 0
; COMPUTE_PGM_RSRC2:USER_SGPR: 2
; COMPUTE_PGM_RSRC2:TRAP_HANDLER: 0
; COMPUTE_PGM_RSRC2:TGID_X_EN: 1
; COMPUTE_PGM_RSRC2:TGID_Y_EN: 0
; COMPUTE_PGM_RSRC2:TGID_Z_EN: 0
; COMPUTE_PGM_RSRC2:TIDIG_COMP_CNT: 0
	.section	.text._ZN9rocsparseL22gebsrmvn_mxn_16_kernelILj64ELj16ELj1E21rocsparse_complex_numIfEEEvi20rocsparse_direction_NS_24const_host_device_scalarIT2_EEPKiS8_PKS5_iiSA_S6_PS5_21rocsparse_index_base_b,"axG",@progbits,_ZN9rocsparseL22gebsrmvn_mxn_16_kernelILj64ELj16ELj1E21rocsparse_complex_numIfEEEvi20rocsparse_direction_NS_24const_host_device_scalarIT2_EEPKiS8_PKS5_iiSA_S6_PS5_21rocsparse_index_base_b,comdat
	.globl	_ZN9rocsparseL22gebsrmvn_mxn_16_kernelILj64ELj16ELj1E21rocsparse_complex_numIfEEEvi20rocsparse_direction_NS_24const_host_device_scalarIT2_EEPKiS8_PKS5_iiSA_S6_PS5_21rocsparse_index_base_b ; -- Begin function _ZN9rocsparseL22gebsrmvn_mxn_16_kernelILj64ELj16ELj1E21rocsparse_complex_numIfEEEvi20rocsparse_direction_NS_24const_host_device_scalarIT2_EEPKiS8_PKS5_iiSA_S6_PS5_21rocsparse_index_base_b
	.p2align	8
	.type	_ZN9rocsparseL22gebsrmvn_mxn_16_kernelILj64ELj16ELj1E21rocsparse_complex_numIfEEEvi20rocsparse_direction_NS_24const_host_device_scalarIT2_EEPKiS8_PKS5_iiSA_S6_PS5_21rocsparse_index_base_b,@function
_ZN9rocsparseL22gebsrmvn_mxn_16_kernelILj64ELj16ELj1E21rocsparse_complex_numIfEEEvi20rocsparse_direction_NS_24const_host_device_scalarIT2_EEPKiS8_PKS5_iiSA_S6_PS5_21rocsparse_index_base_b: ; @_ZN9rocsparseL22gebsrmvn_mxn_16_kernelILj64ELj16ELj1E21rocsparse_complex_numIfEEEvi20rocsparse_direction_NS_24const_host_device_scalarIT2_EEPKiS8_PKS5_iiSA_S6_PS5_21rocsparse_index_base_b
; %bb.0:
	s_clause 0x2
	s_load_b64 s[10:11], s[0:1], 0x48
	s_load_b64 s[2:3], s[0:1], 0x8
	;; [unrolled: 1-line block ×3, first 2 shown]
	v_mov_b32_e32 v1, 0
	s_add_nc_u64 s[6:7], s[0:1], 8
	s_add_nc_u64 s[8:9], s[0:1], 56
	s_wait_kmcnt 0x0
	s_bitcmp1_b32 s11, 0
	s_cselect_b32 s3, s7, s3
	s_cselect_b32 s2, s6, s2
	;; [unrolled: 1-line block ×4, first 2 shown]
	s_clause 0x1
	flat_load_b64 v[2:3], v1, s[2:3]
	flat_load_b64 v[4:5], v1, s[4:5]
	s_wait_loadcnt_dscnt 0x101
	v_cmp_eq_f32_e32 vcc_lo, 0, v2
	v_cmp_eq_f32_e64 s2, 0, v3
	s_wait_loadcnt_dscnt 0x0
	v_cmp_eq_f32_e64 s3, 1.0, v4
	v_cmp_eq_f32_e64 s4, 0, v5
	s_and_b32 s2, vcc_lo, s2
	s_and_b32 s3, s3, s4
	s_mov_b32 s4, -1
	s_and_b32 s2, s2, s3
	s_delay_alu instid0(SALU_CYCLE_1) | instskip(NEXT) | instid1(SALU_CYCLE_1)
	s_xor_b32 s2, s2, -1
	s_and_saveexec_b32 s3, s2
	s_cbranch_execz .LBB94_17
; %bb.1:
	s_load_b64 s[2:3], s[0:1], 0x10
	s_bfe_u32 s5, ttmp6, 0x4000c
	s_and_b32 s6, ttmp6, 15
	s_add_co_i32 s5, s5, 1
	s_getreg_b32 s7, hwreg(HW_REG_IB_STS2, 6, 4)
	s_mul_i32 s5, ttmp9, s5
	s_delay_alu instid0(SALU_CYCLE_1) | instskip(SKIP_2) | instid1(SALU_CYCLE_1)
	s_add_co_i32 s6, s6, s5
	s_cmp_eq_u32 s7, 0
	s_cselect_b32 s8, ttmp9, s6
	s_ashr_i32 s9, s8, 31
	s_delay_alu instid0(SALU_CYCLE_1)
	s_lshl_b64 s[6:7], s[8:9], 2
	s_wait_kmcnt 0x0
	s_add_nc_u64 s[2:3], s[2:3], s[6:7]
	s_load_b64 s[14:15], s[2:3], 0x0
	s_wait_kmcnt 0x0
	s_cmp_lt_i32 s14, s15
	s_cbranch_scc1 .LBB94_3
; %bb.2:
	s_mov_b32 s4, 0
.LBB94_3:
	s_load_b64 s[2:3], s[0:1], 0x40
	v_mov_b32_e32 v7, 0
	s_and_not1_b32 vcc_lo, exec_lo, s4
	s_delay_alu instid0(VALU_DEP_1)
	v_mov_b32_e32 v6, v7
	s_cbranch_vccnz .LBB94_8
; %bb.4:
	s_clause 0x1
	s_load_b128 s[4:7], s[0:1], 0x18
	s_load_b64 s[12:13], s[0:1], 0x30
	v_lshl_add_u32 v7, s14, 4, v0
	v_dual_mov_b32 v6, 0 :: v_dual_lshrrev_b32 v1, 4, v0
	s_wait_xcnt 0x0
	s_lshl_b32 s0, s10, 4
	s_sub_co_i32 s1, s14, s10
	v_subrev_nc_u32_e32 v8, s0, v7
	v_mov_b32_e32 v7, v6
	s_sub_co_i32 s0, s15, s10
	s_branch .LBB94_6
.LBB94_5:                               ;   in Loop: Header=BB94_6 Depth=1
	s_or_b32 exec_lo, exec_lo, s9
	v_add_nc_u32_e32 v8, 64, v8
	s_add_co_i32 s1, s1, 4
	s_delay_alu instid0(SALU_CYCLE_1)
	s_cmp_ge_i32 s1, s0
	s_cbranch_scc1 .LBB94_8
.LBB94_6:                               ; =>This Inner Loop Header: Depth=1
	v_add_nc_u32_e32 v9, s1, v1
	s_mov_b32 s9, exec_lo
	s_delay_alu instid0(VALU_DEP_1)
	v_cmpx_gt_i32_e64 s0, v9
	s_cbranch_execz .LBB94_5
; %bb.7:                                ;   in Loop: Header=BB94_6 Depth=1
	s_wait_kmcnt 0x0
	global_load_b32 v9, v9, s[4:5] scale_offset
	s_wait_loadcnt 0x0
	v_subrev_nc_u32_e32 v9, s10, v9
	global_load_b64 v[10:11], v9, s[12:13] scale_offset
	global_load_b64 v[12:13], v8, s[6:7] scale_offset
	s_wait_loadcnt 0x0
	v_pk_fma_f32 v[6:7], v[12:13], v[10:11], v[6:7] op_sel_hi:[1,0,1]
	s_delay_alu instid0(VALU_DEP_1)
	v_pk_fma_f32 v[6:7], v[12:13], v[10:11], v[6:7] op_sel:[1,1,0] op_sel_hi:[0,1,1] neg_lo:[1,0,0]
	s_branch .LBB94_5
.LBB94_8:
	v_lshlrev_b32_e32 v1, 3, v0
	s_wait_xcnt 0x0
	s_mov_b32 s0, exec_lo
	ds_store_b64 v1, v[6:7]
	s_wait_dscnt 0x0
	s_barrier_signal -1
	s_barrier_wait -1
	v_cmpx_gt_u32_e32 32, v0
	s_cbranch_execz .LBB94_10
; %bb.9:
	ds_load_2addr_b64 v[6:9], v1 offset1:32
	s_wait_dscnt 0x0
	v_pk_add_f32 v[6:7], v[8:9], v[6:7]
	ds_store_b64 v1, v[6:7]
.LBB94_10:
	s_or_b32 exec_lo, exec_lo, s0
	v_cmp_gt_u32_e32 vcc_lo, 16, v0
	s_wait_dscnt 0x0
	s_barrier_signal -1
	s_barrier_wait -1
	s_and_saveexec_b32 s0, vcc_lo
	s_cbranch_execz .LBB94_12
; %bb.11:
	ds_load_2addr_b64 v[6:9], v1 offset1:16
	s_wait_dscnt 0x0
	v_pk_add_f32 v[6:7], v[8:9], v[6:7]
	ds_store_b64 v1, v[6:7]
.LBB94_12:
	s_or_b32 exec_lo, exec_lo, s0
	s_wait_dscnt 0x0
	s_barrier_signal -1
	s_barrier_wait -1
	s_and_b32 exec_lo, exec_lo, vcc_lo
	s_cbranch_execz .LBB94_17
; %bb.13:
	ds_load_b64 v[6:7], v1
	v_cmp_eq_f32_e32 vcc_lo, 0, v4
	v_cmp_eq_f32_e64 s0, 0, v5
	v_xor_b32_e32 v8, 0x80000000, v3
	v_lshl_or_b32 v0, s8, 4, v0
	s_and_b32 s0, vcc_lo, s0
	s_delay_alu instid0(SALU_CYCLE_1) | instskip(NEXT) | instid1(SALU_CYCLE_1)
	s_and_saveexec_b32 s1, s0
	s_xor_b32 s0, exec_lo, s1
	s_cbranch_execz .LBB94_15
; %bb.14:
	s_wait_dscnt 0x0
	v_dual_mov_b32 v4, v7 :: v_dual_mov_b32 v9, v2
	s_delay_alu instid0(VALU_DEP_1) | instskip(NEXT) | instid1(VALU_DEP_1)
	v_pk_mul_f32 v[4:5], v[4:5], v[8:9] op_sel_hi:[0,1]
                                        ; implicit-def: $vgpr8
	v_pk_fma_f32 v[2:3], v[2:3], v[6:7], v[4:5] op_sel_hi:[1,0,1]
                                        ; implicit-def: $vgpr4_vgpr5
                                        ; implicit-def: $vgpr7
	s_wait_kmcnt 0x0
	global_store_b64 v0, v[2:3], s[2:3] scale_offset
                                        ; implicit-def: $vgpr0
                                        ; implicit-def: $vgpr2_vgpr3
.LBB94_15:
	s_wait_xcnt 0x0
	s_and_not1_saveexec_b32 s0, s0
	s_cbranch_execz .LBB94_17
; %bb.16:
	s_wait_kmcnt 0x0
	global_load_b64 v[10:11], v0, s[2:3] scale_offset
	s_wait_dscnt 0x0
	v_dual_mov_b32 v12, v7 :: v_dual_mov_b32 v9, v2
	s_delay_alu instid0(VALU_DEP_1) | instskip(NEXT) | instid1(VALU_DEP_1)
	v_pk_mul_f32 v[8:9], v[12:13], v[8:9] op_sel_hi:[0,1]
	v_pk_fma_f32 v[2:3], v[2:3], v[6:7], v[8:9] op_sel_hi:[1,0,1]
	v_xor_b32_e32 v6, 0x80000000, v5
	v_mov_b32_e32 v7, v4
	s_wait_loadcnt 0x0
	s_delay_alu instid0(VALU_DEP_3) | instskip(NEXT) | instid1(VALU_DEP_1)
	v_pk_fma_f32 v[2:3], v[4:5], v[10:11], v[2:3] op_sel_hi:[1,0,1]
	v_pk_fma_f32 v[2:3], v[6:7], v[10:11], v[2:3] op_sel:[0,1,0]
	global_store_b64 v0, v[2:3], s[2:3] scale_offset
.LBB94_17:
	s_endpgm
	.section	.rodata,"a",@progbits
	.p2align	6, 0x0
	.amdhsa_kernel _ZN9rocsparseL22gebsrmvn_mxn_16_kernelILj64ELj16ELj1E21rocsparse_complex_numIfEEEvi20rocsparse_direction_NS_24const_host_device_scalarIT2_EEPKiS8_PKS5_iiSA_S6_PS5_21rocsparse_index_base_b
		.amdhsa_group_segment_fixed_size 512
		.amdhsa_private_segment_fixed_size 0
		.amdhsa_kernarg_size 80
		.amdhsa_user_sgpr_count 2
		.amdhsa_user_sgpr_dispatch_ptr 0
		.amdhsa_user_sgpr_queue_ptr 0
		.amdhsa_user_sgpr_kernarg_segment_ptr 1
		.amdhsa_user_sgpr_dispatch_id 0
		.amdhsa_user_sgpr_kernarg_preload_length 0
		.amdhsa_user_sgpr_kernarg_preload_offset 0
		.amdhsa_user_sgpr_private_segment_size 0
		.amdhsa_wavefront_size32 1
		.amdhsa_uses_dynamic_stack 0
		.amdhsa_enable_private_segment 0
		.amdhsa_system_sgpr_workgroup_id_x 1
		.amdhsa_system_sgpr_workgroup_id_y 0
		.amdhsa_system_sgpr_workgroup_id_z 0
		.amdhsa_system_sgpr_workgroup_info 0
		.amdhsa_system_vgpr_workitem_id 0
		.amdhsa_next_free_vgpr 14
		.amdhsa_next_free_sgpr 16
		.amdhsa_named_barrier_count 0
		.amdhsa_reserve_vcc 1
		.amdhsa_float_round_mode_32 0
		.amdhsa_float_round_mode_16_64 0
		.amdhsa_float_denorm_mode_32 3
		.amdhsa_float_denorm_mode_16_64 3
		.amdhsa_fp16_overflow 0
		.amdhsa_memory_ordered 1
		.amdhsa_forward_progress 1
		.amdhsa_inst_pref_size 7
		.amdhsa_round_robin_scheduling 0
		.amdhsa_exception_fp_ieee_invalid_op 0
		.amdhsa_exception_fp_denorm_src 0
		.amdhsa_exception_fp_ieee_div_zero 0
		.amdhsa_exception_fp_ieee_overflow 0
		.amdhsa_exception_fp_ieee_underflow 0
		.amdhsa_exception_fp_ieee_inexact 0
		.amdhsa_exception_int_div_zero 0
	.end_amdhsa_kernel
	.section	.text._ZN9rocsparseL22gebsrmvn_mxn_16_kernelILj64ELj16ELj1E21rocsparse_complex_numIfEEEvi20rocsparse_direction_NS_24const_host_device_scalarIT2_EEPKiS8_PKS5_iiSA_S6_PS5_21rocsparse_index_base_b,"axG",@progbits,_ZN9rocsparseL22gebsrmvn_mxn_16_kernelILj64ELj16ELj1E21rocsparse_complex_numIfEEEvi20rocsparse_direction_NS_24const_host_device_scalarIT2_EEPKiS8_PKS5_iiSA_S6_PS5_21rocsparse_index_base_b,comdat
.Lfunc_end94:
	.size	_ZN9rocsparseL22gebsrmvn_mxn_16_kernelILj64ELj16ELj1E21rocsparse_complex_numIfEEEvi20rocsparse_direction_NS_24const_host_device_scalarIT2_EEPKiS8_PKS5_iiSA_S6_PS5_21rocsparse_index_base_b, .Lfunc_end94-_ZN9rocsparseL22gebsrmvn_mxn_16_kernelILj64ELj16ELj1E21rocsparse_complex_numIfEEEvi20rocsparse_direction_NS_24const_host_device_scalarIT2_EEPKiS8_PKS5_iiSA_S6_PS5_21rocsparse_index_base_b
                                        ; -- End function
	.set _ZN9rocsparseL22gebsrmvn_mxn_16_kernelILj64ELj16ELj1E21rocsparse_complex_numIfEEEvi20rocsparse_direction_NS_24const_host_device_scalarIT2_EEPKiS8_PKS5_iiSA_S6_PS5_21rocsparse_index_base_b.num_vgpr, 14
	.set _ZN9rocsparseL22gebsrmvn_mxn_16_kernelILj64ELj16ELj1E21rocsparse_complex_numIfEEEvi20rocsparse_direction_NS_24const_host_device_scalarIT2_EEPKiS8_PKS5_iiSA_S6_PS5_21rocsparse_index_base_b.num_agpr, 0
	.set _ZN9rocsparseL22gebsrmvn_mxn_16_kernelILj64ELj16ELj1E21rocsparse_complex_numIfEEEvi20rocsparse_direction_NS_24const_host_device_scalarIT2_EEPKiS8_PKS5_iiSA_S6_PS5_21rocsparse_index_base_b.numbered_sgpr, 16
	.set _ZN9rocsparseL22gebsrmvn_mxn_16_kernelILj64ELj16ELj1E21rocsparse_complex_numIfEEEvi20rocsparse_direction_NS_24const_host_device_scalarIT2_EEPKiS8_PKS5_iiSA_S6_PS5_21rocsparse_index_base_b.num_named_barrier, 0
	.set _ZN9rocsparseL22gebsrmvn_mxn_16_kernelILj64ELj16ELj1E21rocsparse_complex_numIfEEEvi20rocsparse_direction_NS_24const_host_device_scalarIT2_EEPKiS8_PKS5_iiSA_S6_PS5_21rocsparse_index_base_b.private_seg_size, 0
	.set _ZN9rocsparseL22gebsrmvn_mxn_16_kernelILj64ELj16ELj1E21rocsparse_complex_numIfEEEvi20rocsparse_direction_NS_24const_host_device_scalarIT2_EEPKiS8_PKS5_iiSA_S6_PS5_21rocsparse_index_base_b.uses_vcc, 1
	.set _ZN9rocsparseL22gebsrmvn_mxn_16_kernelILj64ELj16ELj1E21rocsparse_complex_numIfEEEvi20rocsparse_direction_NS_24const_host_device_scalarIT2_EEPKiS8_PKS5_iiSA_S6_PS5_21rocsparse_index_base_b.uses_flat_scratch, 1
	.set _ZN9rocsparseL22gebsrmvn_mxn_16_kernelILj64ELj16ELj1E21rocsparse_complex_numIfEEEvi20rocsparse_direction_NS_24const_host_device_scalarIT2_EEPKiS8_PKS5_iiSA_S6_PS5_21rocsparse_index_base_b.has_dyn_sized_stack, 0
	.set _ZN9rocsparseL22gebsrmvn_mxn_16_kernelILj64ELj16ELj1E21rocsparse_complex_numIfEEEvi20rocsparse_direction_NS_24const_host_device_scalarIT2_EEPKiS8_PKS5_iiSA_S6_PS5_21rocsparse_index_base_b.has_recursion, 0
	.set _ZN9rocsparseL22gebsrmvn_mxn_16_kernelILj64ELj16ELj1E21rocsparse_complex_numIfEEEvi20rocsparse_direction_NS_24const_host_device_scalarIT2_EEPKiS8_PKS5_iiSA_S6_PS5_21rocsparse_index_base_b.has_indirect_call, 0
	.section	.AMDGPU.csdata,"",@progbits
; Kernel info:
; codeLenInByte = 832
; TotalNumSgprs: 18
; NumVgprs: 14
; ScratchSize: 0
; MemoryBound: 0
; FloatMode: 240
; IeeeMode: 1
; LDSByteSize: 512 bytes/workgroup (compile time only)
; SGPRBlocks: 0
; VGPRBlocks: 0
; NumSGPRsForWavesPerEU: 18
; NumVGPRsForWavesPerEU: 14
; NamedBarCnt: 0
; Occupancy: 16
; WaveLimiterHint : 1
; COMPUTE_PGM_RSRC2:SCRATCH_EN: 0
; COMPUTE_PGM_RSRC2:USER_SGPR: 2
; COMPUTE_PGM_RSRC2:TRAP_HANDLER: 0
; COMPUTE_PGM_RSRC2:TGID_X_EN: 1
; COMPUTE_PGM_RSRC2:TGID_Y_EN: 0
; COMPUTE_PGM_RSRC2:TGID_Z_EN: 0
; COMPUTE_PGM_RSRC2:TIDIG_COMP_CNT: 0
	.section	.text._ZN9rocsparseL22gebsrmvn_mxn_16_kernelILj64ELj16ELj2E21rocsparse_complex_numIfEEEvi20rocsparse_direction_NS_24const_host_device_scalarIT2_EEPKiS8_PKS5_iiSA_S6_PS5_21rocsparse_index_base_b,"axG",@progbits,_ZN9rocsparseL22gebsrmvn_mxn_16_kernelILj64ELj16ELj2E21rocsparse_complex_numIfEEEvi20rocsparse_direction_NS_24const_host_device_scalarIT2_EEPKiS8_PKS5_iiSA_S6_PS5_21rocsparse_index_base_b,comdat
	.globl	_ZN9rocsparseL22gebsrmvn_mxn_16_kernelILj64ELj16ELj2E21rocsparse_complex_numIfEEEvi20rocsparse_direction_NS_24const_host_device_scalarIT2_EEPKiS8_PKS5_iiSA_S6_PS5_21rocsparse_index_base_b ; -- Begin function _ZN9rocsparseL22gebsrmvn_mxn_16_kernelILj64ELj16ELj2E21rocsparse_complex_numIfEEEvi20rocsparse_direction_NS_24const_host_device_scalarIT2_EEPKiS8_PKS5_iiSA_S6_PS5_21rocsparse_index_base_b
	.p2align	8
	.type	_ZN9rocsparseL22gebsrmvn_mxn_16_kernelILj64ELj16ELj2E21rocsparse_complex_numIfEEEvi20rocsparse_direction_NS_24const_host_device_scalarIT2_EEPKiS8_PKS5_iiSA_S6_PS5_21rocsparse_index_base_b,@function
_ZN9rocsparseL22gebsrmvn_mxn_16_kernelILj64ELj16ELj2E21rocsparse_complex_numIfEEEvi20rocsparse_direction_NS_24const_host_device_scalarIT2_EEPKiS8_PKS5_iiSA_S6_PS5_21rocsparse_index_base_b: ; @_ZN9rocsparseL22gebsrmvn_mxn_16_kernelILj64ELj16ELj2E21rocsparse_complex_numIfEEEvi20rocsparse_direction_NS_24const_host_device_scalarIT2_EEPKiS8_PKS5_iiSA_S6_PS5_21rocsparse_index_base_b
; %bb.0:
	s_clause 0x2
	s_load_b64 s[10:11], s[0:1], 0x48
	s_load_b64 s[2:3], s[0:1], 0x8
	;; [unrolled: 1-line block ×3, first 2 shown]
	v_mov_b32_e32 v1, 0
	s_add_nc_u64 s[6:7], s[0:1], 8
	s_add_nc_u64 s[8:9], s[0:1], 56
	s_wait_kmcnt 0x0
	s_bitcmp1_b32 s11, 0
	s_cselect_b32 s3, s7, s3
	s_cselect_b32 s2, s6, s2
	s_cselect_b32 s5, s9, s5
	s_cselect_b32 s4, s8, s4
	s_clause 0x1
	flat_load_b64 v[2:3], v1, s[2:3]
	flat_load_b64 v[4:5], v1, s[4:5]
	s_wait_loadcnt_dscnt 0x101
	v_cmp_eq_f32_e32 vcc_lo, 0, v2
	v_cmp_eq_f32_e64 s2, 0, v3
	s_wait_loadcnt_dscnt 0x0
	v_cmp_eq_f32_e64 s3, 1.0, v4
	v_cmp_eq_f32_e64 s4, 0, v5
	s_and_b32 s2, vcc_lo, s2
	s_and_b32 s3, s3, s4
	s_delay_alu instid0(SALU_CYCLE_1) | instskip(NEXT) | instid1(SALU_CYCLE_1)
	s_and_b32 s2, s2, s3
	s_xor_b32 s2, s2, -1
	s_delay_alu instid0(SALU_CYCLE_1)
	s_and_saveexec_b32 s3, s2
	s_cbranch_execz .LBB95_26
; %bb.1:
	s_clause 0x2
	s_load_b64 s[2:3], s[0:1], 0x40
	s_load_b32 s6, s[0:1], 0x4
	s_load_b64 s[4:5], s[0:1], 0x10
	s_bfe_u32 s7, ttmp6, 0x4000c
	s_and_b32 s8, ttmp6, 15
	s_add_co_i32 s7, s7, 1
	s_getreg_b32 s9, hwreg(HW_REG_IB_STS2, 6, 4)
	s_mul_i32 s7, ttmp9, s7
	v_and_b32_e32 v8, 1, v0
	s_add_co_i32 s8, s8, s7
	s_cmp_eq_u32 s9, 0
	s_cselect_b32 s8, ttmp9, s8
	s_wait_kmcnt 0x0
	s_cmp_eq_u32 s6, 1
	s_cselect_b32 vcc_lo, -1, 0
	s_cmp_lg_u32 s6, 1
	s_cselect_b32 s11, -1, 0
	s_ashr_i32 s9, s8, 31
	s_delay_alu instid0(SALU_CYCLE_1) | instskip(NEXT) | instid1(SALU_CYCLE_1)
	s_lshl_b64 s[6:7], s[8:9], 2
	s_add_nc_u64 s[4:5], s[4:5], s[6:7]
	s_load_b64 s[14:15], s[4:5], 0x0
	s_wait_kmcnt 0x0
	s_cmp_ge_i32 s14, s15
	s_cbranch_scc1 .LBB95_6
; %bb.2:
	s_clause 0x1
	s_load_b128 s[4:7], s[0:1], 0x18
	s_load_b64 s[12:13], s[0:1], 0x30
	v_bfe_u32 v1, v0, 4, 1
	v_lshl_add_u32 v10, s14, 5, v0
	s_wait_xcnt 0x0
	s_lshl_b32 s0, s10, 5
	v_mov_b64_e32 v[6:7], 0
	v_dual_lshrrev_b32 v9, 5, v0 :: v_dual_cndmask_b32 v1, v8, v1, vcc_lo
	v_subrev_nc_u32_e32 v10, s0, v10
	s_sub_co_i32 s0, s15, s10
	s_sub_co_i32 s1, s14, s10
	s_branch .LBB95_4
.LBB95_3:                               ;   in Loop: Header=BB95_4 Depth=1
	s_or_b32 exec_lo, exec_lo, s9
	v_add_nc_u32_e32 v10, 64, v10
	s_add_co_i32 s1, s1, 2
	s_delay_alu instid0(SALU_CYCLE_1)
	s_cmp_ge_i32 s1, s0
	s_cbranch_scc1 .LBB95_7
.LBB95_4:                               ; =>This Inner Loop Header: Depth=1
	v_add_nc_u32_e32 v11, s1, v9
	s_mov_b32 s9, exec_lo
	s_delay_alu instid0(VALU_DEP_1)
	v_cmpx_gt_i32_e64 s0, v11
	s_cbranch_execz .LBB95_3
; %bb.5:                                ;   in Loop: Header=BB95_4 Depth=1
	s_wait_kmcnt 0x0
	global_load_b32 v11, v11, s[4:5] scale_offset
	s_wait_loadcnt 0x0
	v_subrev_nc_u32_e32 v11, s10, v11
	s_delay_alu instid0(VALU_DEP_1) | instskip(SKIP_4) | instid1(VALU_DEP_1)
	v_lshl_or_b32 v11, v11, 1, v1
	global_load_b64 v[12:13], v11, s[12:13] scale_offset
	global_load_b64 v[14:15], v10, s[6:7] scale_offset
	s_wait_loadcnt 0x0
	v_pk_fma_f32 v[6:7], v[14:15], v[12:13], v[6:7] op_sel_hi:[1,0,1]
	v_pk_fma_f32 v[6:7], v[14:15], v[12:13], v[6:7] op_sel:[1,1,0] op_sel_hi:[0,1,1] neg_lo:[1,0,0]
	s_branch .LBB95_3
.LBB95_6:
	v_mov_b64_e32 v[6:7], 0
.LBB95_7:
	v_lshlrev_b32_e32 v1, 3, v0
	s_mov_b32 s0, exec_lo
	ds_store_b64 v1, v[6:7]
	s_wait_dscnt 0x0
	s_barrier_signal -1
	s_barrier_wait -1
	v_cmpx_gt_u32_e32 32, v0
	s_cbranch_execz .LBB95_9
; %bb.8:
	ds_load_2addr_b64 v[10:13], v1 offset1:32
	s_wait_dscnt 0x0
	v_pk_add_f32 v[10:11], v[12:13], v[10:11]
	ds_store_b64 v1, v[10:11]
.LBB95_9:
	s_or_b32 exec_lo, exec_lo, s0
	s_delay_alu instid0(SALU_CYCLE_1)
	s_and_b32 vcc_lo, exec_lo, s11
	s_wait_dscnt 0x0
	s_barrier_signal -1
	s_barrier_wait -1
	s_cbranch_vccz .LBB95_15
; %bb.10:
	s_mov_b32 s0, exec_lo
	v_cmpx_eq_u32_e32 0, v8
	s_cbranch_execz .LBB95_12
; %bb.11:
	ds_load_2addr_b64 v[8:11], v1 offset1:1
	s_wait_dscnt 0x0
	v_pk_add_f32 v[8:9], v[10:11], v[8:9]
	ds_store_b64 v1, v[8:9]
.LBB95_12:
	s_or_b32 exec_lo, exec_lo, s0
	v_mov_b64_e32 v[8:9], v[6:7]
	s_mov_b32 s0, exec_lo
	s_wait_dscnt 0x0
	s_barrier_signal -1
	s_barrier_wait -1
	v_cmpx_gt_u32_e32 16, v0
; %bb.13:
	v_lshl_add_u32 v8, v0, 3, v1
	ds_load_b64 v[8:9], v8
; %bb.14:
	s_or_b32 exec_lo, exec_lo, s0
	s_branch .LBB95_21
.LBB95_15:
                                        ; implicit-def: $vgpr8_vgpr9
	s_cbranch_execz .LBB95_21
; %bb.16:
	s_mov_b32 s0, exec_lo
	v_cmpx_lt_u32_e32 15, v0
	s_xor_b32 s0, exec_lo, s0
	s_cbranch_execz .LBB95_18
; %bb.17:
	s_wait_dscnt 0x0
                                        ; implicit-def: $vgpr1
.LBB95_18:
	s_and_not1_saveexec_b32 s0, s0
	s_cbranch_execz .LBB95_20
; %bb.19:
	s_wait_dscnt 0x0
	ds_load_2addr_b64 v[6:9], v1 offset1:16
	s_wait_dscnt 0x0
	v_pk_add_f32 v[6:7], v[8:9], v[6:7]
	ds_store_b64 v1, v[6:7]
	s_wait_dscnt 0x0
	ds_load_b64 v[6:7], v1
.LBB95_20:
	s_or_b32 exec_lo, exec_lo, s0
	s_wait_dscnt 0x0
	v_mov_b64_e32 v[8:9], v[6:7]
.LBB95_21:
	v_cmp_gt_u32_e32 vcc_lo, 16, v0
	s_and_b32 exec_lo, exec_lo, vcc_lo
	s_cbranch_execz .LBB95_26
; %bb.22:
	v_cmp_eq_f32_e32 vcc_lo, 0, v4
	v_cmp_eq_f32_e64 s0, 0, v5
	v_xor_b32_e32 v6, 0x80000000, v3
	v_lshl_or_b32 v0, s8, 4, v0
	s_and_b32 s0, vcc_lo, s0
	s_delay_alu instid0(SALU_CYCLE_1) | instskip(NEXT) | instid1(SALU_CYCLE_1)
	s_and_saveexec_b32 s1, s0
	s_xor_b32 s0, exec_lo, s1
	s_cbranch_execz .LBB95_24
; %bb.23:
	v_mov_b32_e32 v7, v2
	s_wait_dscnt 0x0
	s_delay_alu instid0(VALU_DEP_1) | instskip(NEXT) | instid1(VALU_DEP_1)
	v_pk_mul_f32 v[4:5], v[8:9], v[6:7] op_sel:[1,0]
                                        ; implicit-def: $vgpr6
	v_pk_fma_f32 v[2:3], v[2:3], v[8:9], v[4:5] op_sel_hi:[1,0,1]
                                        ; implicit-def: $vgpr4_vgpr5
                                        ; implicit-def: $vgpr8_vgpr9
	global_store_b64 v0, v[2:3], s[2:3] scale_offset
                                        ; implicit-def: $vgpr0
                                        ; implicit-def: $vgpr2_vgpr3
.LBB95_24:
	s_wait_xcnt 0x0
	s_and_not1_saveexec_b32 s0, s0
	s_cbranch_execz .LBB95_26
; %bb.25:
	global_load_b64 v[10:11], v0, s[2:3] scale_offset
	v_mov_b32_e32 v7, v2
	s_wait_dscnt 0x0
	s_delay_alu instid0(VALU_DEP_1) | instskip(NEXT) | instid1(VALU_DEP_1)
	v_pk_mul_f32 v[6:7], v[8:9], v[6:7] op_sel:[1,0]
	v_pk_fma_f32 v[2:3], v[2:3], v[8:9], v[6:7] op_sel_hi:[1,0,1]
	v_xor_b32_e32 v6, 0x80000000, v5
	v_mov_b32_e32 v7, v4
	s_wait_loadcnt 0x0
	s_delay_alu instid0(VALU_DEP_3) | instskip(NEXT) | instid1(VALU_DEP_1)
	v_pk_fma_f32 v[2:3], v[4:5], v[10:11], v[2:3] op_sel_hi:[1,0,1]
	v_pk_fma_f32 v[2:3], v[6:7], v[10:11], v[2:3] op_sel:[0,1,0]
	global_store_b64 v0, v[2:3], s[2:3] scale_offset
.LBB95_26:
	s_endpgm
	.section	.rodata,"a",@progbits
	.p2align	6, 0x0
	.amdhsa_kernel _ZN9rocsparseL22gebsrmvn_mxn_16_kernelILj64ELj16ELj2E21rocsparse_complex_numIfEEEvi20rocsparse_direction_NS_24const_host_device_scalarIT2_EEPKiS8_PKS5_iiSA_S6_PS5_21rocsparse_index_base_b
		.amdhsa_group_segment_fixed_size 512
		.amdhsa_private_segment_fixed_size 0
		.amdhsa_kernarg_size 80
		.amdhsa_user_sgpr_count 2
		.amdhsa_user_sgpr_dispatch_ptr 0
		.amdhsa_user_sgpr_queue_ptr 0
		.amdhsa_user_sgpr_kernarg_segment_ptr 1
		.amdhsa_user_sgpr_dispatch_id 0
		.amdhsa_user_sgpr_kernarg_preload_length 0
		.amdhsa_user_sgpr_kernarg_preload_offset 0
		.amdhsa_user_sgpr_private_segment_size 0
		.amdhsa_wavefront_size32 1
		.amdhsa_uses_dynamic_stack 0
		.amdhsa_enable_private_segment 0
		.amdhsa_system_sgpr_workgroup_id_x 1
		.amdhsa_system_sgpr_workgroup_id_y 0
		.amdhsa_system_sgpr_workgroup_id_z 0
		.amdhsa_system_sgpr_workgroup_info 0
		.amdhsa_system_vgpr_workitem_id 0
		.amdhsa_next_free_vgpr 16
		.amdhsa_next_free_sgpr 16
		.amdhsa_named_barrier_count 0
		.amdhsa_reserve_vcc 1
		.amdhsa_float_round_mode_32 0
		.amdhsa_float_round_mode_16_64 0
		.amdhsa_float_denorm_mode_32 3
		.amdhsa_float_denorm_mode_16_64 3
		.amdhsa_fp16_overflow 0
		.amdhsa_memory_ordered 1
		.amdhsa_forward_progress 1
		.amdhsa_inst_pref_size 8
		.amdhsa_round_robin_scheduling 0
		.amdhsa_exception_fp_ieee_invalid_op 0
		.amdhsa_exception_fp_denorm_src 0
		.amdhsa_exception_fp_ieee_div_zero 0
		.amdhsa_exception_fp_ieee_overflow 0
		.amdhsa_exception_fp_ieee_underflow 0
		.amdhsa_exception_fp_ieee_inexact 0
		.amdhsa_exception_int_div_zero 0
	.end_amdhsa_kernel
	.section	.text._ZN9rocsparseL22gebsrmvn_mxn_16_kernelILj64ELj16ELj2E21rocsparse_complex_numIfEEEvi20rocsparse_direction_NS_24const_host_device_scalarIT2_EEPKiS8_PKS5_iiSA_S6_PS5_21rocsparse_index_base_b,"axG",@progbits,_ZN9rocsparseL22gebsrmvn_mxn_16_kernelILj64ELj16ELj2E21rocsparse_complex_numIfEEEvi20rocsparse_direction_NS_24const_host_device_scalarIT2_EEPKiS8_PKS5_iiSA_S6_PS5_21rocsparse_index_base_b,comdat
.Lfunc_end95:
	.size	_ZN9rocsparseL22gebsrmvn_mxn_16_kernelILj64ELj16ELj2E21rocsparse_complex_numIfEEEvi20rocsparse_direction_NS_24const_host_device_scalarIT2_EEPKiS8_PKS5_iiSA_S6_PS5_21rocsparse_index_base_b, .Lfunc_end95-_ZN9rocsparseL22gebsrmvn_mxn_16_kernelILj64ELj16ELj2E21rocsparse_complex_numIfEEEvi20rocsparse_direction_NS_24const_host_device_scalarIT2_EEPKiS8_PKS5_iiSA_S6_PS5_21rocsparse_index_base_b
                                        ; -- End function
	.set _ZN9rocsparseL22gebsrmvn_mxn_16_kernelILj64ELj16ELj2E21rocsparse_complex_numIfEEEvi20rocsparse_direction_NS_24const_host_device_scalarIT2_EEPKiS8_PKS5_iiSA_S6_PS5_21rocsparse_index_base_b.num_vgpr, 16
	.set _ZN9rocsparseL22gebsrmvn_mxn_16_kernelILj64ELj16ELj2E21rocsparse_complex_numIfEEEvi20rocsparse_direction_NS_24const_host_device_scalarIT2_EEPKiS8_PKS5_iiSA_S6_PS5_21rocsparse_index_base_b.num_agpr, 0
	.set _ZN9rocsparseL22gebsrmvn_mxn_16_kernelILj64ELj16ELj2E21rocsparse_complex_numIfEEEvi20rocsparse_direction_NS_24const_host_device_scalarIT2_EEPKiS8_PKS5_iiSA_S6_PS5_21rocsparse_index_base_b.numbered_sgpr, 16
	.set _ZN9rocsparseL22gebsrmvn_mxn_16_kernelILj64ELj16ELj2E21rocsparse_complex_numIfEEEvi20rocsparse_direction_NS_24const_host_device_scalarIT2_EEPKiS8_PKS5_iiSA_S6_PS5_21rocsparse_index_base_b.num_named_barrier, 0
	.set _ZN9rocsparseL22gebsrmvn_mxn_16_kernelILj64ELj16ELj2E21rocsparse_complex_numIfEEEvi20rocsparse_direction_NS_24const_host_device_scalarIT2_EEPKiS8_PKS5_iiSA_S6_PS5_21rocsparse_index_base_b.private_seg_size, 0
	.set _ZN9rocsparseL22gebsrmvn_mxn_16_kernelILj64ELj16ELj2E21rocsparse_complex_numIfEEEvi20rocsparse_direction_NS_24const_host_device_scalarIT2_EEPKiS8_PKS5_iiSA_S6_PS5_21rocsparse_index_base_b.uses_vcc, 1
	.set _ZN9rocsparseL22gebsrmvn_mxn_16_kernelILj64ELj16ELj2E21rocsparse_complex_numIfEEEvi20rocsparse_direction_NS_24const_host_device_scalarIT2_EEPKiS8_PKS5_iiSA_S6_PS5_21rocsparse_index_base_b.uses_flat_scratch, 1
	.set _ZN9rocsparseL22gebsrmvn_mxn_16_kernelILj64ELj16ELj2E21rocsparse_complex_numIfEEEvi20rocsparse_direction_NS_24const_host_device_scalarIT2_EEPKiS8_PKS5_iiSA_S6_PS5_21rocsparse_index_base_b.has_dyn_sized_stack, 0
	.set _ZN9rocsparseL22gebsrmvn_mxn_16_kernelILj64ELj16ELj2E21rocsparse_complex_numIfEEEvi20rocsparse_direction_NS_24const_host_device_scalarIT2_EEPKiS8_PKS5_iiSA_S6_PS5_21rocsparse_index_base_b.has_recursion, 0
	.set _ZN9rocsparseL22gebsrmvn_mxn_16_kernelILj64ELj16ELj2E21rocsparse_complex_numIfEEEvi20rocsparse_direction_NS_24const_host_device_scalarIT2_EEPKiS8_PKS5_iiSA_S6_PS5_21rocsparse_index_base_b.has_indirect_call, 0
	.section	.AMDGPU.csdata,"",@progbits
; Kernel info:
; codeLenInByte = 972
; TotalNumSgprs: 18
; NumVgprs: 16
; ScratchSize: 0
; MemoryBound: 0
; FloatMode: 240
; IeeeMode: 1
; LDSByteSize: 512 bytes/workgroup (compile time only)
; SGPRBlocks: 0
; VGPRBlocks: 0
; NumSGPRsForWavesPerEU: 18
; NumVGPRsForWavesPerEU: 16
; NamedBarCnt: 0
; Occupancy: 16
; WaveLimiterHint : 1
; COMPUTE_PGM_RSRC2:SCRATCH_EN: 0
; COMPUTE_PGM_RSRC2:USER_SGPR: 2
; COMPUTE_PGM_RSRC2:TRAP_HANDLER: 0
; COMPUTE_PGM_RSRC2:TGID_X_EN: 1
; COMPUTE_PGM_RSRC2:TGID_Y_EN: 0
; COMPUTE_PGM_RSRC2:TGID_Z_EN: 0
; COMPUTE_PGM_RSRC2:TIDIG_COMP_CNT: 0
	.section	.text._ZN9rocsparseL22gebsrmvn_mxn_16_kernelILj48ELj16ELj3E21rocsparse_complex_numIfEEEvi20rocsparse_direction_NS_24const_host_device_scalarIT2_EEPKiS8_PKS5_iiSA_S6_PS5_21rocsparse_index_base_b,"axG",@progbits,_ZN9rocsparseL22gebsrmvn_mxn_16_kernelILj48ELj16ELj3E21rocsparse_complex_numIfEEEvi20rocsparse_direction_NS_24const_host_device_scalarIT2_EEPKiS8_PKS5_iiSA_S6_PS5_21rocsparse_index_base_b,comdat
	.globl	_ZN9rocsparseL22gebsrmvn_mxn_16_kernelILj48ELj16ELj3E21rocsparse_complex_numIfEEEvi20rocsparse_direction_NS_24const_host_device_scalarIT2_EEPKiS8_PKS5_iiSA_S6_PS5_21rocsparse_index_base_b ; -- Begin function _ZN9rocsparseL22gebsrmvn_mxn_16_kernelILj48ELj16ELj3E21rocsparse_complex_numIfEEEvi20rocsparse_direction_NS_24const_host_device_scalarIT2_EEPKiS8_PKS5_iiSA_S6_PS5_21rocsparse_index_base_b
	.p2align	8
	.type	_ZN9rocsparseL22gebsrmvn_mxn_16_kernelILj48ELj16ELj3E21rocsparse_complex_numIfEEEvi20rocsparse_direction_NS_24const_host_device_scalarIT2_EEPKiS8_PKS5_iiSA_S6_PS5_21rocsparse_index_base_b,@function
_ZN9rocsparseL22gebsrmvn_mxn_16_kernelILj48ELj16ELj3E21rocsparse_complex_numIfEEEvi20rocsparse_direction_NS_24const_host_device_scalarIT2_EEPKiS8_PKS5_iiSA_S6_PS5_21rocsparse_index_base_b: ; @_ZN9rocsparseL22gebsrmvn_mxn_16_kernelILj48ELj16ELj3E21rocsparse_complex_numIfEEEvi20rocsparse_direction_NS_24const_host_device_scalarIT2_EEPKiS8_PKS5_iiSA_S6_PS5_21rocsparse_index_base_b
; %bb.0:
	s_clause 0x2
	s_load_b64 s[10:11], s[0:1], 0x48
	s_load_b64 s[2:3], s[0:1], 0x8
	s_load_b64 s[4:5], s[0:1], 0x38
	v_mov_b32_e32 v1, 0
	s_add_nc_u64 s[6:7], s[0:1], 8
	s_add_nc_u64 s[8:9], s[0:1], 56
	s_wait_kmcnt 0x0
	s_bitcmp1_b32 s11, 0
	s_cselect_b32 s3, s7, s3
	s_cselect_b32 s2, s6, s2
	;; [unrolled: 1-line block ×4, first 2 shown]
	s_clause 0x1
	flat_load_b64 v[2:3], v1, s[2:3]
	flat_load_b64 v[4:5], v1, s[4:5]
	s_wait_loadcnt_dscnt 0x101
	v_cmp_eq_f32_e32 vcc_lo, 0, v2
	v_cmp_eq_f32_e64 s2, 0, v3
	s_wait_loadcnt_dscnt 0x0
	v_cmp_eq_f32_e64 s3, 1.0, v4
	v_cmp_eq_f32_e64 s4, 0, v5
	s_and_b32 s2, vcc_lo, s2
	s_and_b32 s3, s3, s4
	s_delay_alu instid0(SALU_CYCLE_1) | instskip(NEXT) | instid1(SALU_CYCLE_1)
	s_and_b32 s2, s2, s3
	s_xor_b32 s2, s2, -1
	s_delay_alu instid0(SALU_CYCLE_1)
	s_and_saveexec_b32 s3, s2
	s_cbranch_execz .LBB96_28
; %bb.1:
	s_clause 0x2
	s_load_b64 s[2:3], s[0:1], 0x40
	s_load_b32 s6, s[0:1], 0x4
	s_load_b64 s[4:5], s[0:1], 0x10
	s_bfe_u32 s7, ttmp6, 0x4000c
	s_and_b32 s8, ttmp6, 15
	s_add_co_i32 s7, s7, 1
	s_getreg_b32 s9, hwreg(HW_REG_IB_STS2, 6, 4)
	s_mul_i32 s7, ttmp9, s7
	v_mul_u32_u24_e32 v1, 0x5556, v0
	s_add_co_i32 s8, s8, s7
	s_cmp_eq_u32 s9, 0
	s_cselect_b32 s8, ttmp9, s8
	s_delay_alu instid0(VALU_DEP_1) | instskip(NEXT) | instid1(VALU_DEP_1)
	v_lshrrev_b32_e32 v1, 16, v1
	v_mul_lo_u16 v1, v1, 3
	s_wait_kmcnt 0x0
	s_cmp_eq_u32 s6, 1
	s_delay_alu instid0(VALU_DEP_1) | instskip(SKIP_4) | instid1(SALU_CYCLE_1)
	v_sub_nc_u16 v8, v0, v1
	s_cselect_b32 vcc_lo, -1, 0
	s_cmp_lg_u32 s6, 1
	s_cselect_b32 s11, -1, 0
	s_ashr_i32 s9, s8, 31
	s_lshl_b64 s[6:7], s[8:9], 2
	s_delay_alu instid0(SALU_CYCLE_1)
	s_add_nc_u64 s[4:5], s[4:5], s[6:7]
	s_load_b64 s[14:15], s[4:5], 0x0
	s_wait_kmcnt 0x0
	s_cmp_ge_i32 s14, s15
	s_cbranch_scc1 .LBB96_6
; %bb.2:
	v_lshrrev_b32_e32 v1, 4, v0
	s_clause 0x1
	s_load_b128 s[4:7], s[0:1], 0x18
	s_load_b64 s[12:13], s[0:1], 0x30
	v_mad_u32 v10, s14, 48, v0
	v_and_b32_e32 v7, 0xffff, v0
	v_and_b32_e32 v9, 0xffff, v8
	v_mul_lo_u16 v6, 0x56, v1
	s_wait_xcnt 0x0
	s_mul_i32 s0, s10, 48
	s_sub_co_i32 s1, s14, s10
	v_mul_u32_u24_e32 v11, 0x556, v7
	v_lshrrev_b16 v6, 8, v6
	v_subrev_nc_u32_e32 v10, s0, v10
	s_sub_co_i32 s0, s15, s10
	s_delay_alu instid0(VALU_DEP_2) | instskip(NEXT) | instid1(VALU_DEP_1)
	v_mul_lo_u16 v6, v6, 3
	v_sub_nc_u16 v1, v1, v6
	v_mov_b64_e32 v[6:7], 0
	s_delay_alu instid0(VALU_DEP_2) | instskip(NEXT) | instid1(VALU_DEP_1)
	v_and_b32_e32 v12, 0xff, v1
	v_dual_lshrrev_b32 v1, 16, v11 :: v_dual_cndmask_b32 v9, v9, v12, vcc_lo
	s_branch .LBB96_4
.LBB96_3:                               ;   in Loop: Header=BB96_4 Depth=1
	s_or_b32 exec_lo, exec_lo, s9
	v_add_nc_u32_e32 v10, 48, v10
	s_add_co_i32 s1, s1, 1
	s_delay_alu instid0(SALU_CYCLE_1)
	s_cmp_ge_i32 s1, s0
	s_cbranch_scc1 .LBB96_7
.LBB96_4:                               ; =>This Inner Loop Header: Depth=1
	s_delay_alu instid0(VALU_DEP_1) | instskip(SKIP_1) | instid1(VALU_DEP_1)
	v_add_nc_u32_e32 v11, s1, v1
	s_mov_b32 s9, exec_lo
	v_cmpx_gt_i32_e64 s0, v11
	s_cbranch_execz .LBB96_3
; %bb.5:                                ;   in Loop: Header=BB96_4 Depth=1
	s_wait_kmcnt 0x0
	global_load_b32 v11, v11, s[4:5] scale_offset
	s_wait_loadcnt 0x0
	v_subrev_nc_u32_e32 v11, s10, v11
	s_delay_alu instid0(VALU_DEP_1) | instskip(SKIP_4) | instid1(VALU_DEP_1)
	v_mad_u32 v11, v11, 3, v9
	global_load_b64 v[12:13], v11, s[12:13] scale_offset
	global_load_b64 v[14:15], v10, s[6:7] scale_offset
	s_wait_loadcnt 0x0
	v_pk_fma_f32 v[6:7], v[14:15], v[12:13], v[6:7] op_sel_hi:[1,0,1]
	v_pk_fma_f32 v[6:7], v[14:15], v[12:13], v[6:7] op_sel:[1,1,0] op_sel_hi:[0,1,1] neg_lo:[1,0,0]
	s_branch .LBB96_3
.LBB96_6:
	v_mov_b64_e32 v[6:7], 0
.LBB96_7:
	v_lshlrev_b32_e32 v1, 3, v0
	s_and_b32 vcc_lo, exec_lo, s11
	ds_store_b64 v1, v[6:7]
	s_wait_dscnt 0x0
	s_barrier_signal -1
	s_barrier_wait -1
	s_cbranch_vccz .LBB96_15
; %bb.8:
	v_cmp_eq_u16_e32 vcc_lo, 0, v8
	s_and_saveexec_b32 s0, vcc_lo
	s_cbranch_execz .LBB96_10
; %bb.9:
	ds_load_2addr_b64 v[8:11], v1 offset1:2
	s_wait_dscnt 0x0
	v_pk_add_f32 v[8:9], v[10:11], v[8:9]
	ds_store_b64 v1, v[8:9]
.LBB96_10:
	s_or_b32 exec_lo, exec_lo, s0
	s_wait_dscnt 0x0
	s_barrier_signal -1
	s_barrier_wait -1
	s_and_saveexec_b32 s0, vcc_lo
	s_cbranch_execz .LBB96_12
; %bb.11:
	ds_load_2addr_b64 v[8:11], v1 offset1:1
	s_wait_dscnt 0x0
	v_pk_add_f32 v[8:9], v[10:11], v[8:9]
	ds_store_b64 v1, v[8:9]
.LBB96_12:
	s_or_b32 exec_lo, exec_lo, s0
	v_mov_b64_e32 v[8:9], v[6:7]
	s_mov_b32 s0, exec_lo
	s_wait_dscnt 0x0
	s_barrier_signal -1
	s_barrier_wait -1
	v_cmpx_gt_u32_e32 16, v0
; %bb.13:
	v_lshl_add_u32 v8, v0, 4, v1
	ds_load_b64 v[8:9], v8
; %bb.14:
	s_or_b32 exec_lo, exec_lo, s0
	v_cmp_gt_u32_e64 s0, 16, v0
	s_branch .LBB96_23
.LBB96_15:
                                        ; implicit-def: $vgpr8_vgpr9
	v_cmp_gt_u32_e64 s0, 16, v0
	s_cbranch_execz .LBB96_23
; %bb.16:
	v_cmp_lt_u32_e32 vcc_lo, 15, v0
	s_and_saveexec_b32 s1, s0
	s_cbranch_execz .LBB96_18
; %bb.17:
	s_wait_dscnt 0x0
	ds_load_2addr_b64 v[8:11], v1 offset1:32
	s_wait_dscnt 0x0
	v_pk_add_f32 v[8:9], v[10:11], v[8:9]
	ds_store_b64 v1, v[8:9]
.LBB96_18:
	s_or_b32 exec_lo, exec_lo, s1
	s_wait_dscnt 0x0
	s_barrier_signal -1
	s_barrier_wait -1
	s_and_saveexec_b32 s0, vcc_lo
	s_delay_alu instid0(SALU_CYCLE_1)
	s_xor_b32 s0, exec_lo, s0
; %bb.19:
                                        ; implicit-def: $vgpr1
; %bb.20:
	s_delay_alu instid0(SALU_CYCLE_1)
	s_and_not1_saveexec_b32 s0, s0
	s_cbranch_execz .LBB96_22
; %bb.21:
	ds_load_2addr_b64 v[6:9], v1 offset1:16
	s_wait_dscnt 0x0
	v_pk_add_f32 v[6:7], v[8:9], v[6:7]
	ds_store_b64 v1, v[6:7]
	s_wait_dscnt 0x0
	ds_load_b64 v[6:7], v1
.LBB96_22:
	s_or_b32 exec_lo, exec_lo, s0
	s_wait_dscnt 0x0
	v_mov_b64_e32 v[8:9], v[6:7]
.LBB96_23:
	v_cmp_gt_u32_e32 vcc_lo, 16, v0
	s_and_b32 exec_lo, exec_lo, vcc_lo
	s_cbranch_execz .LBB96_28
; %bb.24:
	v_cmp_eq_f32_e32 vcc_lo, 0, v4
	v_cmp_eq_f32_e64 s0, 0, v5
	v_xor_b32_e32 v6, 0x80000000, v3
	v_lshl_or_b32 v0, s8, 4, v0
	s_and_b32 s0, vcc_lo, s0
	s_delay_alu instid0(SALU_CYCLE_1) | instskip(NEXT) | instid1(SALU_CYCLE_1)
	s_and_saveexec_b32 s1, s0
	s_xor_b32 s0, exec_lo, s1
	s_cbranch_execz .LBB96_26
; %bb.25:
	v_mov_b32_e32 v7, v2
	s_wait_dscnt 0x0
	s_delay_alu instid0(VALU_DEP_1) | instskip(NEXT) | instid1(VALU_DEP_1)
	v_pk_mul_f32 v[4:5], v[8:9], v[6:7] op_sel:[1,0]
                                        ; implicit-def: $vgpr6
	v_pk_fma_f32 v[2:3], v[2:3], v[8:9], v[4:5] op_sel_hi:[1,0,1]
                                        ; implicit-def: $vgpr4_vgpr5
                                        ; implicit-def: $vgpr8_vgpr9
	global_store_b64 v0, v[2:3], s[2:3] scale_offset
                                        ; implicit-def: $vgpr0
                                        ; implicit-def: $vgpr2_vgpr3
.LBB96_26:
	s_wait_xcnt 0x0
	s_and_not1_saveexec_b32 s0, s0
	s_cbranch_execz .LBB96_28
; %bb.27:
	global_load_b64 v[10:11], v0, s[2:3] scale_offset
	v_mov_b32_e32 v7, v2
	s_wait_dscnt 0x0
	s_delay_alu instid0(VALU_DEP_1) | instskip(NEXT) | instid1(VALU_DEP_1)
	v_pk_mul_f32 v[6:7], v[8:9], v[6:7] op_sel:[1,0]
	v_pk_fma_f32 v[2:3], v[2:3], v[8:9], v[6:7] op_sel_hi:[1,0,1]
	v_xor_b32_e32 v6, 0x80000000, v5
	v_mov_b32_e32 v7, v4
	s_wait_loadcnt 0x0
	s_delay_alu instid0(VALU_DEP_3) | instskip(NEXT) | instid1(VALU_DEP_1)
	v_pk_fma_f32 v[2:3], v[4:5], v[10:11], v[2:3] op_sel_hi:[1,0,1]
	v_pk_fma_f32 v[2:3], v[6:7], v[10:11], v[2:3] op_sel:[0,1,0]
	global_store_b64 v0, v[2:3], s[2:3] scale_offset
.LBB96_28:
	s_endpgm
	.section	.rodata,"a",@progbits
	.p2align	6, 0x0
	.amdhsa_kernel _ZN9rocsparseL22gebsrmvn_mxn_16_kernelILj48ELj16ELj3E21rocsparse_complex_numIfEEEvi20rocsparse_direction_NS_24const_host_device_scalarIT2_EEPKiS8_PKS5_iiSA_S6_PS5_21rocsparse_index_base_b
		.amdhsa_group_segment_fixed_size 384
		.amdhsa_private_segment_fixed_size 0
		.amdhsa_kernarg_size 80
		.amdhsa_user_sgpr_count 2
		.amdhsa_user_sgpr_dispatch_ptr 0
		.amdhsa_user_sgpr_queue_ptr 0
		.amdhsa_user_sgpr_kernarg_segment_ptr 1
		.amdhsa_user_sgpr_dispatch_id 0
		.amdhsa_user_sgpr_kernarg_preload_length 0
		.amdhsa_user_sgpr_kernarg_preload_offset 0
		.amdhsa_user_sgpr_private_segment_size 0
		.amdhsa_wavefront_size32 1
		.amdhsa_uses_dynamic_stack 0
		.amdhsa_enable_private_segment 0
		.amdhsa_system_sgpr_workgroup_id_x 1
		.amdhsa_system_sgpr_workgroup_id_y 0
		.amdhsa_system_sgpr_workgroup_id_z 0
		.amdhsa_system_sgpr_workgroup_info 0
		.amdhsa_system_vgpr_workitem_id 0
		.amdhsa_next_free_vgpr 16
		.amdhsa_next_free_sgpr 16
		.amdhsa_named_barrier_count 0
		.amdhsa_reserve_vcc 1
		.amdhsa_float_round_mode_32 0
		.amdhsa_float_round_mode_16_64 0
		.amdhsa_float_denorm_mode_32 3
		.amdhsa_float_denorm_mode_16_64 3
		.amdhsa_fp16_overflow 0
		.amdhsa_memory_ordered 1
		.amdhsa_forward_progress 1
		.amdhsa_inst_pref_size 9
		.amdhsa_round_robin_scheduling 0
		.amdhsa_exception_fp_ieee_invalid_op 0
		.amdhsa_exception_fp_denorm_src 0
		.amdhsa_exception_fp_ieee_div_zero 0
		.amdhsa_exception_fp_ieee_overflow 0
		.amdhsa_exception_fp_ieee_underflow 0
		.amdhsa_exception_fp_ieee_inexact 0
		.amdhsa_exception_int_div_zero 0
	.end_amdhsa_kernel
	.section	.text._ZN9rocsparseL22gebsrmvn_mxn_16_kernelILj48ELj16ELj3E21rocsparse_complex_numIfEEEvi20rocsparse_direction_NS_24const_host_device_scalarIT2_EEPKiS8_PKS5_iiSA_S6_PS5_21rocsparse_index_base_b,"axG",@progbits,_ZN9rocsparseL22gebsrmvn_mxn_16_kernelILj48ELj16ELj3E21rocsparse_complex_numIfEEEvi20rocsparse_direction_NS_24const_host_device_scalarIT2_EEPKiS8_PKS5_iiSA_S6_PS5_21rocsparse_index_base_b,comdat
.Lfunc_end96:
	.size	_ZN9rocsparseL22gebsrmvn_mxn_16_kernelILj48ELj16ELj3E21rocsparse_complex_numIfEEEvi20rocsparse_direction_NS_24const_host_device_scalarIT2_EEPKiS8_PKS5_iiSA_S6_PS5_21rocsparse_index_base_b, .Lfunc_end96-_ZN9rocsparseL22gebsrmvn_mxn_16_kernelILj48ELj16ELj3E21rocsparse_complex_numIfEEEvi20rocsparse_direction_NS_24const_host_device_scalarIT2_EEPKiS8_PKS5_iiSA_S6_PS5_21rocsparse_index_base_b
                                        ; -- End function
	.set _ZN9rocsparseL22gebsrmvn_mxn_16_kernelILj48ELj16ELj3E21rocsparse_complex_numIfEEEvi20rocsparse_direction_NS_24const_host_device_scalarIT2_EEPKiS8_PKS5_iiSA_S6_PS5_21rocsparse_index_base_b.num_vgpr, 16
	.set _ZN9rocsparseL22gebsrmvn_mxn_16_kernelILj48ELj16ELj3E21rocsparse_complex_numIfEEEvi20rocsparse_direction_NS_24const_host_device_scalarIT2_EEPKiS8_PKS5_iiSA_S6_PS5_21rocsparse_index_base_b.num_agpr, 0
	.set _ZN9rocsparseL22gebsrmvn_mxn_16_kernelILj48ELj16ELj3E21rocsparse_complex_numIfEEEvi20rocsparse_direction_NS_24const_host_device_scalarIT2_EEPKiS8_PKS5_iiSA_S6_PS5_21rocsparse_index_base_b.numbered_sgpr, 16
	.set _ZN9rocsparseL22gebsrmvn_mxn_16_kernelILj48ELj16ELj3E21rocsparse_complex_numIfEEEvi20rocsparse_direction_NS_24const_host_device_scalarIT2_EEPKiS8_PKS5_iiSA_S6_PS5_21rocsparse_index_base_b.num_named_barrier, 0
	.set _ZN9rocsparseL22gebsrmvn_mxn_16_kernelILj48ELj16ELj3E21rocsparse_complex_numIfEEEvi20rocsparse_direction_NS_24const_host_device_scalarIT2_EEPKiS8_PKS5_iiSA_S6_PS5_21rocsparse_index_base_b.private_seg_size, 0
	.set _ZN9rocsparseL22gebsrmvn_mxn_16_kernelILj48ELj16ELj3E21rocsparse_complex_numIfEEEvi20rocsparse_direction_NS_24const_host_device_scalarIT2_EEPKiS8_PKS5_iiSA_S6_PS5_21rocsparse_index_base_b.uses_vcc, 1
	.set _ZN9rocsparseL22gebsrmvn_mxn_16_kernelILj48ELj16ELj3E21rocsparse_complex_numIfEEEvi20rocsparse_direction_NS_24const_host_device_scalarIT2_EEPKiS8_PKS5_iiSA_S6_PS5_21rocsparse_index_base_b.uses_flat_scratch, 1
	.set _ZN9rocsparseL22gebsrmvn_mxn_16_kernelILj48ELj16ELj3E21rocsparse_complex_numIfEEEvi20rocsparse_direction_NS_24const_host_device_scalarIT2_EEPKiS8_PKS5_iiSA_S6_PS5_21rocsparse_index_base_b.has_dyn_sized_stack, 0
	.set _ZN9rocsparseL22gebsrmvn_mxn_16_kernelILj48ELj16ELj3E21rocsparse_complex_numIfEEEvi20rocsparse_direction_NS_24const_host_device_scalarIT2_EEPKiS8_PKS5_iiSA_S6_PS5_21rocsparse_index_base_b.has_recursion, 0
	.set _ZN9rocsparseL22gebsrmvn_mxn_16_kernelILj48ELj16ELj3E21rocsparse_complex_numIfEEEvi20rocsparse_direction_NS_24const_host_device_scalarIT2_EEPKiS8_PKS5_iiSA_S6_PS5_21rocsparse_index_base_b.has_indirect_call, 0
	.section	.AMDGPU.csdata,"",@progbits
; Kernel info:
; codeLenInByte = 1136
; TotalNumSgprs: 18
; NumVgprs: 16
; ScratchSize: 0
; MemoryBound: 0
; FloatMode: 240
; IeeeMode: 1
; LDSByteSize: 384 bytes/workgroup (compile time only)
; SGPRBlocks: 0
; VGPRBlocks: 0
; NumSGPRsForWavesPerEU: 18
; NumVGPRsForWavesPerEU: 16
; NamedBarCnt: 0
; Occupancy: 16
; WaveLimiterHint : 1
; COMPUTE_PGM_RSRC2:SCRATCH_EN: 0
; COMPUTE_PGM_RSRC2:USER_SGPR: 2
; COMPUTE_PGM_RSRC2:TRAP_HANDLER: 0
; COMPUTE_PGM_RSRC2:TGID_X_EN: 1
; COMPUTE_PGM_RSRC2:TGID_Y_EN: 0
; COMPUTE_PGM_RSRC2:TGID_Z_EN: 0
; COMPUTE_PGM_RSRC2:TIDIG_COMP_CNT: 0
	.section	.text._ZN9rocsparseL22gebsrmvn_mxn_16_kernelILj64ELj16ELj4E21rocsparse_complex_numIfEEEvi20rocsparse_direction_NS_24const_host_device_scalarIT2_EEPKiS8_PKS5_iiSA_S6_PS5_21rocsparse_index_base_b,"axG",@progbits,_ZN9rocsparseL22gebsrmvn_mxn_16_kernelILj64ELj16ELj4E21rocsparse_complex_numIfEEEvi20rocsparse_direction_NS_24const_host_device_scalarIT2_EEPKiS8_PKS5_iiSA_S6_PS5_21rocsparse_index_base_b,comdat
	.globl	_ZN9rocsparseL22gebsrmvn_mxn_16_kernelILj64ELj16ELj4E21rocsparse_complex_numIfEEEvi20rocsparse_direction_NS_24const_host_device_scalarIT2_EEPKiS8_PKS5_iiSA_S6_PS5_21rocsparse_index_base_b ; -- Begin function _ZN9rocsparseL22gebsrmvn_mxn_16_kernelILj64ELj16ELj4E21rocsparse_complex_numIfEEEvi20rocsparse_direction_NS_24const_host_device_scalarIT2_EEPKiS8_PKS5_iiSA_S6_PS5_21rocsparse_index_base_b
	.p2align	8
	.type	_ZN9rocsparseL22gebsrmvn_mxn_16_kernelILj64ELj16ELj4E21rocsparse_complex_numIfEEEvi20rocsparse_direction_NS_24const_host_device_scalarIT2_EEPKiS8_PKS5_iiSA_S6_PS5_21rocsparse_index_base_b,@function
_ZN9rocsparseL22gebsrmvn_mxn_16_kernelILj64ELj16ELj4E21rocsparse_complex_numIfEEEvi20rocsparse_direction_NS_24const_host_device_scalarIT2_EEPKiS8_PKS5_iiSA_S6_PS5_21rocsparse_index_base_b: ; @_ZN9rocsparseL22gebsrmvn_mxn_16_kernelILj64ELj16ELj4E21rocsparse_complex_numIfEEEvi20rocsparse_direction_NS_24const_host_device_scalarIT2_EEPKiS8_PKS5_iiSA_S6_PS5_21rocsparse_index_base_b
; %bb.0:
	s_clause 0x2
	s_load_b64 s[10:11], s[0:1], 0x48
	s_load_b64 s[2:3], s[0:1], 0x8
	;; [unrolled: 1-line block ×3, first 2 shown]
	v_mov_b32_e32 v1, 0
	s_add_nc_u64 s[6:7], s[0:1], 8
	s_add_nc_u64 s[8:9], s[0:1], 56
	s_wait_kmcnt 0x0
	s_bitcmp1_b32 s11, 0
	s_cselect_b32 s3, s7, s3
	s_cselect_b32 s2, s6, s2
	;; [unrolled: 1-line block ×4, first 2 shown]
	s_clause 0x1
	flat_load_b64 v[2:3], v1, s[2:3]
	flat_load_b64 v[4:5], v1, s[4:5]
	s_wait_loadcnt_dscnt 0x101
	v_cmp_eq_f32_e32 vcc_lo, 0, v2
	v_cmp_eq_f32_e64 s2, 0, v3
	s_wait_loadcnt_dscnt 0x0
	v_cmp_eq_f32_e64 s3, 1.0, v4
	v_cmp_eq_f32_e64 s4, 0, v5
	s_and_b32 s2, vcc_lo, s2
	s_and_b32 s3, s3, s4
	s_delay_alu instid0(SALU_CYCLE_1) | instskip(NEXT) | instid1(SALU_CYCLE_1)
	s_and_b32 s2, s2, s3
	s_xor_b32 s2, s2, -1
	s_delay_alu instid0(SALU_CYCLE_1)
	s_and_saveexec_b32 s3, s2
	s_cbranch_execz .LBB97_28
; %bb.1:
	s_clause 0x2
	s_load_b64 s[2:3], s[0:1], 0x40
	s_load_b32 s6, s[0:1], 0x4
	s_load_b64 s[4:5], s[0:1], 0x10
	s_bfe_u32 s7, ttmp6, 0x4000c
	s_and_b32 s8, ttmp6, 15
	s_add_co_i32 s7, s7, 1
	s_getreg_b32 s9, hwreg(HW_REG_IB_STS2, 6, 4)
	s_mul_i32 s7, ttmp9, s7
	v_and_b32_e32 v8, 3, v0
	s_add_co_i32 s8, s8, s7
	s_cmp_eq_u32 s9, 0
	s_cselect_b32 s8, ttmp9, s8
	s_wait_kmcnt 0x0
	s_cmp_eq_u32 s6, 1
	s_cselect_b32 vcc_lo, -1, 0
	s_cmp_lg_u32 s6, 1
	s_cselect_b32 s11, -1, 0
	s_ashr_i32 s9, s8, 31
	s_delay_alu instid0(SALU_CYCLE_1) | instskip(NEXT) | instid1(SALU_CYCLE_1)
	s_lshl_b64 s[6:7], s[8:9], 2
	s_add_nc_u64 s[4:5], s[4:5], s[6:7]
	s_load_b64 s[14:15], s[4:5], 0x0
	s_wait_kmcnt 0x0
	s_cmp_ge_i32 s14, s15
	s_cbranch_scc1 .LBB97_6
; %bb.2:
	s_clause 0x1
	s_load_b128 s[4:7], s[0:1], 0x18
	s_load_b64 s[12:13], s[0:1], 0x30
	v_lshrrev_b32_e32 v1, 4, v0
	v_lshl_or_b32 v9, s14, 6, v0
	s_wait_xcnt 0x0
	s_lshl_b32 s0, s10, 6
	v_mov_b64_e32 v[6:7], 0
	s_sub_co_i32 s1, s14, s10
	v_cndmask_b32_e32 v1, v8, v1, vcc_lo
	v_subrev_nc_u32_e32 v9, s0, v9
	s_sub_co_i32 s0, s15, s10
	s_branch .LBB97_4
.LBB97_3:                               ;   in Loop: Header=BB97_4 Depth=1
	s_or_b32 exec_lo, exec_lo, s9
	v_add_nc_u32_e32 v9, 64, v9
	s_add_co_i32 s1, s1, 1
	s_delay_alu instid0(SALU_CYCLE_1)
	s_cmp_ge_i32 s1, s0
	s_cbranch_scc1 .LBB97_7
.LBB97_4:                               ; =>This Inner Loop Header: Depth=1
	s_cmp_lt_i32 s1, s0
	s_cselect_b32 s14, -1, 0
	s_delay_alu instid0(SALU_CYCLE_1)
	s_and_saveexec_b32 s9, s14
	s_cbranch_execz .LBB97_3
; %bb.5:                                ;   in Loop: Header=BB97_4 Depth=1
	v_mov_b32_e32 v10, s1
	s_wait_kmcnt 0x0
	global_load_b32 v10, v10, s[4:5] scale_offset
	s_wait_loadcnt 0x0
	v_subrev_nc_u32_e32 v10, s10, v10
	s_delay_alu instid0(VALU_DEP_1) | instskip(SKIP_4) | instid1(VALU_DEP_1)
	v_lshl_or_b32 v14, v10, 2, v1
	global_load_b64 v[10:11], v14, s[12:13] scale_offset
	global_load_b64 v[12:13], v9, s[6:7] scale_offset
	s_wait_loadcnt 0x0
	v_pk_fma_f32 v[6:7], v[12:13], v[10:11], v[6:7] op_sel_hi:[1,0,1]
	v_pk_fma_f32 v[6:7], v[12:13], v[10:11], v[6:7] op_sel:[1,1,0] op_sel_hi:[0,1,1] neg_lo:[1,0,0]
	s_branch .LBB97_3
.LBB97_6:
	v_mov_b64_e32 v[6:7], 0
.LBB97_7:
	v_lshlrev_b32_e32 v1, 3, v0
	s_and_b32 vcc_lo, exec_lo, s11
	ds_store_b64 v1, v[6:7]
	s_wait_dscnt 0x0
	s_barrier_signal -1
	s_barrier_wait -1
	s_cbranch_vccz .LBB97_15
; %bb.8:
	s_mov_b32 s0, exec_lo
	v_cmpx_gt_u32_e32 2, v8
	s_cbranch_execz .LBB97_10
; %bb.9:
	ds_load_2addr_b64 v[10:13], v1 offset1:2
	s_wait_dscnt 0x0
	v_pk_add_f32 v[10:11], v[12:13], v[10:11]
	ds_store_b64 v1, v[10:11]
.LBB97_10:
	s_or_b32 exec_lo, exec_lo, s0
	s_delay_alu instid0(SALU_CYCLE_1)
	s_mov_b32 s0, exec_lo
	s_wait_dscnt 0x0
	s_barrier_signal -1
	s_barrier_wait -1
	v_cmpx_eq_u32_e32 0, v8
	s_cbranch_execz .LBB97_12
; %bb.11:
	ds_load_2addr_b64 v[8:11], v1 offset1:1
	s_wait_dscnt 0x0
	v_pk_add_f32 v[8:9], v[10:11], v[8:9]
	ds_store_b64 v1, v[8:9]
.LBB97_12:
	s_or_b32 exec_lo, exec_lo, s0
	v_mov_b64_e32 v[8:9], v[6:7]
	s_mov_b32 s0, exec_lo
	s_wait_dscnt 0x0
	s_barrier_signal -1
	s_barrier_wait -1
	v_cmpx_gt_u32_e32 16, v0
; %bb.13:
	v_mad_u32_u24 v8, v0, 24, v1
	ds_load_b64 v[8:9], v8
; %bb.14:
	s_or_b32 exec_lo, exec_lo, s0
	s_branch .LBB97_23
.LBB97_15:
                                        ; implicit-def: $vgpr8_vgpr9
	s_cbranch_execz .LBB97_23
; %bb.16:
	s_mov_b32 s0, exec_lo
	v_cmpx_gt_u32_e32 32, v0
	s_cbranch_execz .LBB97_18
; %bb.17:
	s_wait_dscnt 0x0
	ds_load_2addr_b64 v[8:11], v1 offset1:32
	s_wait_dscnt 0x0
	v_pk_add_f32 v[8:9], v[10:11], v[8:9]
	ds_store_b64 v1, v[8:9]
.LBB97_18:
	s_or_b32 exec_lo, exec_lo, s0
	s_delay_alu instid0(SALU_CYCLE_1)
	s_mov_b32 s0, exec_lo
	s_wait_dscnt 0x0
	v_cmpx_lt_u32_e32 15, v0
	s_xor_b32 s0, exec_lo, s0
; %bb.19:
                                        ; implicit-def: $vgpr1
; %bb.20:
	s_delay_alu instid0(SALU_CYCLE_1)
	s_and_not1_saveexec_b32 s0, s0
	s_cbranch_execz .LBB97_22
; %bb.21:
	ds_load_2addr_b64 v[6:9], v1 offset1:16
	s_wait_dscnt 0x0
	v_pk_add_f32 v[6:7], v[8:9], v[6:7]
	ds_store_b64 v1, v[6:7]
	s_wait_dscnt 0x0
	ds_load_b64 v[6:7], v1
.LBB97_22:
	s_or_b32 exec_lo, exec_lo, s0
	s_wait_dscnt 0x0
	v_mov_b64_e32 v[8:9], v[6:7]
.LBB97_23:
	v_cmp_gt_u32_e32 vcc_lo, 16, v0
	s_and_b32 exec_lo, exec_lo, vcc_lo
	s_cbranch_execz .LBB97_28
; %bb.24:
	v_cmp_eq_f32_e32 vcc_lo, 0, v4
	v_cmp_eq_f32_e64 s0, 0, v5
	v_xor_b32_e32 v6, 0x80000000, v3
	v_lshl_or_b32 v0, s8, 4, v0
	s_and_b32 s0, vcc_lo, s0
	s_delay_alu instid0(SALU_CYCLE_1) | instskip(NEXT) | instid1(SALU_CYCLE_1)
	s_and_saveexec_b32 s1, s0
	s_xor_b32 s0, exec_lo, s1
	s_cbranch_execz .LBB97_26
; %bb.25:
	v_mov_b32_e32 v7, v2
	s_wait_dscnt 0x0
	s_delay_alu instid0(VALU_DEP_1) | instskip(NEXT) | instid1(VALU_DEP_1)
	v_pk_mul_f32 v[4:5], v[8:9], v[6:7] op_sel:[1,0]
                                        ; implicit-def: $vgpr6
	v_pk_fma_f32 v[2:3], v[2:3], v[8:9], v[4:5] op_sel_hi:[1,0,1]
                                        ; implicit-def: $vgpr4_vgpr5
                                        ; implicit-def: $vgpr8_vgpr9
	global_store_b64 v0, v[2:3], s[2:3] scale_offset
                                        ; implicit-def: $vgpr0
                                        ; implicit-def: $vgpr2_vgpr3
.LBB97_26:
	s_wait_xcnt 0x0
	s_and_not1_saveexec_b32 s0, s0
	s_cbranch_execz .LBB97_28
; %bb.27:
	global_load_b64 v[10:11], v0, s[2:3] scale_offset
	v_mov_b32_e32 v7, v2
	s_wait_dscnt 0x0
	s_delay_alu instid0(VALU_DEP_1) | instskip(NEXT) | instid1(VALU_DEP_1)
	v_pk_mul_f32 v[6:7], v[8:9], v[6:7] op_sel:[1,0]
	v_pk_fma_f32 v[2:3], v[2:3], v[8:9], v[6:7] op_sel_hi:[1,0,1]
	v_xor_b32_e32 v6, 0x80000000, v5
	v_mov_b32_e32 v7, v4
	s_wait_loadcnt 0x0
	s_delay_alu instid0(VALU_DEP_3) | instskip(NEXT) | instid1(VALU_DEP_1)
	v_pk_fma_f32 v[2:3], v[4:5], v[10:11], v[2:3] op_sel_hi:[1,0,1]
	v_pk_fma_f32 v[2:3], v[6:7], v[10:11], v[2:3] op_sel:[0,1,0]
	global_store_b64 v0, v[2:3], s[2:3] scale_offset
.LBB97_28:
	s_endpgm
	.section	.rodata,"a",@progbits
	.p2align	6, 0x0
	.amdhsa_kernel _ZN9rocsparseL22gebsrmvn_mxn_16_kernelILj64ELj16ELj4E21rocsparse_complex_numIfEEEvi20rocsparse_direction_NS_24const_host_device_scalarIT2_EEPKiS8_PKS5_iiSA_S6_PS5_21rocsparse_index_base_b
		.amdhsa_group_segment_fixed_size 512
		.amdhsa_private_segment_fixed_size 0
		.amdhsa_kernarg_size 80
		.amdhsa_user_sgpr_count 2
		.amdhsa_user_sgpr_dispatch_ptr 0
		.amdhsa_user_sgpr_queue_ptr 0
		.amdhsa_user_sgpr_kernarg_segment_ptr 1
		.amdhsa_user_sgpr_dispatch_id 0
		.amdhsa_user_sgpr_kernarg_preload_length 0
		.amdhsa_user_sgpr_kernarg_preload_offset 0
		.amdhsa_user_sgpr_private_segment_size 0
		.amdhsa_wavefront_size32 1
		.amdhsa_uses_dynamic_stack 0
		.amdhsa_enable_private_segment 0
		.amdhsa_system_sgpr_workgroup_id_x 1
		.amdhsa_system_sgpr_workgroup_id_y 0
		.amdhsa_system_sgpr_workgroup_id_z 0
		.amdhsa_system_sgpr_workgroup_info 0
		.amdhsa_system_vgpr_workitem_id 0
		.amdhsa_next_free_vgpr 15
		.amdhsa_next_free_sgpr 16
		.amdhsa_named_barrier_count 0
		.amdhsa_reserve_vcc 1
		.amdhsa_float_round_mode_32 0
		.amdhsa_float_round_mode_16_64 0
		.amdhsa_float_denorm_mode_32 3
		.amdhsa_float_denorm_mode_16_64 3
		.amdhsa_fp16_overflow 0
		.amdhsa_memory_ordered 1
		.amdhsa_forward_progress 1
		.amdhsa_inst_pref_size 8
		.amdhsa_round_robin_scheduling 0
		.amdhsa_exception_fp_ieee_invalid_op 0
		.amdhsa_exception_fp_denorm_src 0
		.amdhsa_exception_fp_ieee_div_zero 0
		.amdhsa_exception_fp_ieee_overflow 0
		.amdhsa_exception_fp_ieee_underflow 0
		.amdhsa_exception_fp_ieee_inexact 0
		.amdhsa_exception_int_div_zero 0
	.end_amdhsa_kernel
	.section	.text._ZN9rocsparseL22gebsrmvn_mxn_16_kernelILj64ELj16ELj4E21rocsparse_complex_numIfEEEvi20rocsparse_direction_NS_24const_host_device_scalarIT2_EEPKiS8_PKS5_iiSA_S6_PS5_21rocsparse_index_base_b,"axG",@progbits,_ZN9rocsparseL22gebsrmvn_mxn_16_kernelILj64ELj16ELj4E21rocsparse_complex_numIfEEEvi20rocsparse_direction_NS_24const_host_device_scalarIT2_EEPKiS8_PKS5_iiSA_S6_PS5_21rocsparse_index_base_b,comdat
.Lfunc_end97:
	.size	_ZN9rocsparseL22gebsrmvn_mxn_16_kernelILj64ELj16ELj4E21rocsparse_complex_numIfEEEvi20rocsparse_direction_NS_24const_host_device_scalarIT2_EEPKiS8_PKS5_iiSA_S6_PS5_21rocsparse_index_base_b, .Lfunc_end97-_ZN9rocsparseL22gebsrmvn_mxn_16_kernelILj64ELj16ELj4E21rocsparse_complex_numIfEEEvi20rocsparse_direction_NS_24const_host_device_scalarIT2_EEPKiS8_PKS5_iiSA_S6_PS5_21rocsparse_index_base_b
                                        ; -- End function
	.set _ZN9rocsparseL22gebsrmvn_mxn_16_kernelILj64ELj16ELj4E21rocsparse_complex_numIfEEEvi20rocsparse_direction_NS_24const_host_device_scalarIT2_EEPKiS8_PKS5_iiSA_S6_PS5_21rocsparse_index_base_b.num_vgpr, 15
	.set _ZN9rocsparseL22gebsrmvn_mxn_16_kernelILj64ELj16ELj4E21rocsparse_complex_numIfEEEvi20rocsparse_direction_NS_24const_host_device_scalarIT2_EEPKiS8_PKS5_iiSA_S6_PS5_21rocsparse_index_base_b.num_agpr, 0
	.set _ZN9rocsparseL22gebsrmvn_mxn_16_kernelILj64ELj16ELj4E21rocsparse_complex_numIfEEEvi20rocsparse_direction_NS_24const_host_device_scalarIT2_EEPKiS8_PKS5_iiSA_S6_PS5_21rocsparse_index_base_b.numbered_sgpr, 16
	.set _ZN9rocsparseL22gebsrmvn_mxn_16_kernelILj64ELj16ELj4E21rocsparse_complex_numIfEEEvi20rocsparse_direction_NS_24const_host_device_scalarIT2_EEPKiS8_PKS5_iiSA_S6_PS5_21rocsparse_index_base_b.num_named_barrier, 0
	.set _ZN9rocsparseL22gebsrmvn_mxn_16_kernelILj64ELj16ELj4E21rocsparse_complex_numIfEEEvi20rocsparse_direction_NS_24const_host_device_scalarIT2_EEPKiS8_PKS5_iiSA_S6_PS5_21rocsparse_index_base_b.private_seg_size, 0
	.set _ZN9rocsparseL22gebsrmvn_mxn_16_kernelILj64ELj16ELj4E21rocsparse_complex_numIfEEEvi20rocsparse_direction_NS_24const_host_device_scalarIT2_EEPKiS8_PKS5_iiSA_S6_PS5_21rocsparse_index_base_b.uses_vcc, 1
	.set _ZN9rocsparseL22gebsrmvn_mxn_16_kernelILj64ELj16ELj4E21rocsparse_complex_numIfEEEvi20rocsparse_direction_NS_24const_host_device_scalarIT2_EEPKiS8_PKS5_iiSA_S6_PS5_21rocsparse_index_base_b.uses_flat_scratch, 1
	.set _ZN9rocsparseL22gebsrmvn_mxn_16_kernelILj64ELj16ELj4E21rocsparse_complex_numIfEEEvi20rocsparse_direction_NS_24const_host_device_scalarIT2_EEPKiS8_PKS5_iiSA_S6_PS5_21rocsparse_index_base_b.has_dyn_sized_stack, 0
	.set _ZN9rocsparseL22gebsrmvn_mxn_16_kernelILj64ELj16ELj4E21rocsparse_complex_numIfEEEvi20rocsparse_direction_NS_24const_host_device_scalarIT2_EEPKiS8_PKS5_iiSA_S6_PS5_21rocsparse_index_base_b.has_recursion, 0
	.set _ZN9rocsparseL22gebsrmvn_mxn_16_kernelILj64ELj16ELj4E21rocsparse_complex_numIfEEEvi20rocsparse_direction_NS_24const_host_device_scalarIT2_EEPKiS8_PKS5_iiSA_S6_PS5_21rocsparse_index_base_b.has_indirect_call, 0
	.section	.AMDGPU.csdata,"",@progbits
; Kernel info:
; codeLenInByte = 1008
; TotalNumSgprs: 18
; NumVgprs: 15
; ScratchSize: 0
; MemoryBound: 0
; FloatMode: 240
; IeeeMode: 1
; LDSByteSize: 512 bytes/workgroup (compile time only)
; SGPRBlocks: 0
; VGPRBlocks: 0
; NumSGPRsForWavesPerEU: 18
; NumVGPRsForWavesPerEU: 15
; NamedBarCnt: 0
; Occupancy: 16
; WaveLimiterHint : 1
; COMPUTE_PGM_RSRC2:SCRATCH_EN: 0
; COMPUTE_PGM_RSRC2:USER_SGPR: 2
; COMPUTE_PGM_RSRC2:TRAP_HANDLER: 0
; COMPUTE_PGM_RSRC2:TGID_X_EN: 1
; COMPUTE_PGM_RSRC2:TGID_Y_EN: 0
; COMPUTE_PGM_RSRC2:TGID_Z_EN: 0
; COMPUTE_PGM_RSRC2:TIDIG_COMP_CNT: 0
	.section	.text._ZN9rocsparseL22gebsrmvn_mxn_16_kernelILj80ELj16ELj5E21rocsparse_complex_numIfEEEvi20rocsparse_direction_NS_24const_host_device_scalarIT2_EEPKiS8_PKS5_iiSA_S6_PS5_21rocsparse_index_base_b,"axG",@progbits,_ZN9rocsparseL22gebsrmvn_mxn_16_kernelILj80ELj16ELj5E21rocsparse_complex_numIfEEEvi20rocsparse_direction_NS_24const_host_device_scalarIT2_EEPKiS8_PKS5_iiSA_S6_PS5_21rocsparse_index_base_b,comdat
	.globl	_ZN9rocsparseL22gebsrmvn_mxn_16_kernelILj80ELj16ELj5E21rocsparse_complex_numIfEEEvi20rocsparse_direction_NS_24const_host_device_scalarIT2_EEPKiS8_PKS5_iiSA_S6_PS5_21rocsparse_index_base_b ; -- Begin function _ZN9rocsparseL22gebsrmvn_mxn_16_kernelILj80ELj16ELj5E21rocsparse_complex_numIfEEEvi20rocsparse_direction_NS_24const_host_device_scalarIT2_EEPKiS8_PKS5_iiSA_S6_PS5_21rocsparse_index_base_b
	.p2align	8
	.type	_ZN9rocsparseL22gebsrmvn_mxn_16_kernelILj80ELj16ELj5E21rocsparse_complex_numIfEEEvi20rocsparse_direction_NS_24const_host_device_scalarIT2_EEPKiS8_PKS5_iiSA_S6_PS5_21rocsparse_index_base_b,@function
_ZN9rocsparseL22gebsrmvn_mxn_16_kernelILj80ELj16ELj5E21rocsparse_complex_numIfEEEvi20rocsparse_direction_NS_24const_host_device_scalarIT2_EEPKiS8_PKS5_iiSA_S6_PS5_21rocsparse_index_base_b: ; @_ZN9rocsparseL22gebsrmvn_mxn_16_kernelILj80ELj16ELj5E21rocsparse_complex_numIfEEEvi20rocsparse_direction_NS_24const_host_device_scalarIT2_EEPKiS8_PKS5_iiSA_S6_PS5_21rocsparse_index_base_b
; %bb.0:
	s_clause 0x2
	s_load_b64 s[10:11], s[0:1], 0x48
	s_load_b64 s[2:3], s[0:1], 0x8
	;; [unrolled: 1-line block ×3, first 2 shown]
	v_mov_b32_e32 v1, 0
	s_add_nc_u64 s[6:7], s[0:1], 8
	s_add_nc_u64 s[8:9], s[0:1], 56
	s_wait_kmcnt 0x0
	s_bitcmp1_b32 s11, 0
	s_cselect_b32 s3, s7, s3
	s_cselect_b32 s2, s6, s2
	;; [unrolled: 1-line block ×4, first 2 shown]
	s_clause 0x1
	flat_load_b64 v[2:3], v1, s[2:3]
	flat_load_b64 v[4:5], v1, s[4:5]
	s_wait_loadcnt_dscnt 0x101
	v_cmp_eq_f32_e32 vcc_lo, 0, v2
	v_cmp_eq_f32_e64 s2, 0, v3
	s_wait_loadcnt_dscnt 0x0
	v_cmp_eq_f32_e64 s3, 1.0, v4
	v_cmp_eq_f32_e64 s4, 0, v5
	s_and_b32 s2, vcc_lo, s2
	s_and_b32 s3, s3, s4
	s_delay_alu instid0(SALU_CYCLE_1) | instskip(NEXT) | instid1(SALU_CYCLE_1)
	s_and_b32 s2, s2, s3
	s_xor_b32 s2, s2, -1
	s_delay_alu instid0(SALU_CYCLE_1)
	s_and_saveexec_b32 s3, s2
	s_cbranch_execz .LBB98_32
; %bb.1:
	s_clause 0x2
	s_load_b64 s[2:3], s[0:1], 0x40
	s_load_b32 s6, s[0:1], 0x4
	s_load_b64 s[4:5], s[0:1], 0x10
	s_bfe_u32 s7, ttmp6, 0x4000c
	s_and_b32 s8, ttmp6, 15
	s_add_co_i32 s7, s7, 1
	s_getreg_b32 s9, hwreg(HW_REG_IB_STS2, 6, 4)
	s_mul_i32 s7, ttmp9, s7
	v_mul_u32_u24_e32 v1, 0x3334, v0
	s_add_co_i32 s8, s8, s7
	s_cmp_eq_u32 s9, 0
	s_cselect_b32 s8, ttmp9, s8
	s_delay_alu instid0(VALU_DEP_1) | instskip(NEXT) | instid1(VALU_DEP_1)
	v_lshrrev_b32_e32 v1, 16, v1
	v_mul_lo_u16 v1, v1, 5
	s_wait_kmcnt 0x0
	s_cmp_eq_u32 s6, 1
	s_delay_alu instid0(VALU_DEP_1) | instskip(SKIP_4) | instid1(SALU_CYCLE_1)
	v_sub_nc_u16 v8, v0, v1
	s_cselect_b32 vcc_lo, -1, 0
	s_cmp_lg_u32 s6, 1
	s_cselect_b32 s11, -1, 0
	s_ashr_i32 s9, s8, 31
	s_lshl_b64 s[6:7], s[8:9], 2
	s_delay_alu instid0(SALU_CYCLE_1)
	s_add_nc_u64 s[4:5], s[4:5], s[6:7]
	s_load_b64 s[14:15], s[4:5], 0x0
	s_wait_kmcnt 0x0
	s_cmp_ge_i32 s14, s15
	s_cbranch_scc1 .LBB98_6
; %bb.2:
	v_lshrrev_b32_e32 v1, 4, v0
	s_clause 0x1
	s_load_b128 s[4:7], s[0:1], 0x18
	s_load_b64 s[12:13], s[0:1], 0x30
	v_mad_u32 v10, 0x50, s14, v0
	v_and_b32_e32 v7, 0xffff, v0
	v_and_b32_e32 v9, 0xffff, v8
	v_mul_lo_u16 v6, v1, 52
	s_wait_xcnt 0x0
	s_mul_i32 s0, s10, 0x50
	s_sub_co_i32 s1, s14, s10
	v_mul_u32_u24_e32 v11, 0x334, v7
	v_lshrrev_b16 v6, 8, v6
	v_subrev_nc_u32_e32 v10, s0, v10
	s_sub_co_i32 s0, s15, s10
	s_delay_alu instid0(VALU_DEP_2) | instskip(NEXT) | instid1(VALU_DEP_1)
	v_mul_lo_u16 v6, v6, 5
	v_sub_nc_u16 v1, v1, v6
	v_mov_b64_e32 v[6:7], 0
	s_delay_alu instid0(VALU_DEP_2) | instskip(NEXT) | instid1(VALU_DEP_1)
	v_and_b32_e32 v12, 0xff, v1
	v_dual_lshrrev_b32 v1, 16, v11 :: v_dual_cndmask_b32 v9, v9, v12, vcc_lo
	s_branch .LBB98_4
.LBB98_3:                               ;   in Loop: Header=BB98_4 Depth=1
	s_or_b32 exec_lo, exec_lo, s9
	v_add_nc_u32_e32 v10, 0x50, v10
	s_add_co_i32 s1, s1, 1
	s_delay_alu instid0(SALU_CYCLE_1)
	s_cmp_ge_i32 s1, s0
	s_cbranch_scc1 .LBB98_7
.LBB98_4:                               ; =>This Inner Loop Header: Depth=1
	s_delay_alu instid0(VALU_DEP_1) | instskip(SKIP_1) | instid1(VALU_DEP_1)
	v_add_nc_u32_e32 v11, s1, v1
	s_mov_b32 s9, exec_lo
	v_cmpx_gt_i32_e64 s0, v11
	s_cbranch_execz .LBB98_3
; %bb.5:                                ;   in Loop: Header=BB98_4 Depth=1
	s_wait_kmcnt 0x0
	global_load_b32 v11, v11, s[4:5] scale_offset
	s_wait_loadcnt 0x0
	v_subrev_nc_u32_e32 v11, s10, v11
	s_delay_alu instid0(VALU_DEP_1) | instskip(SKIP_4) | instid1(VALU_DEP_1)
	v_mad_u32 v11, v11, 5, v9
	global_load_b64 v[12:13], v11, s[12:13] scale_offset
	global_load_b64 v[14:15], v10, s[6:7] scale_offset
	s_wait_loadcnt 0x0
	v_pk_fma_f32 v[6:7], v[14:15], v[12:13], v[6:7] op_sel_hi:[1,0,1]
	v_pk_fma_f32 v[6:7], v[14:15], v[12:13], v[6:7] op_sel:[1,1,0] op_sel_hi:[0,1,1] neg_lo:[1,0,0]
	s_branch .LBB98_3
.LBB98_6:
	v_mov_b64_e32 v[6:7], 0
.LBB98_7:
	v_lshlrev_b32_e32 v1, 3, v0
	s_and_b32 vcc_lo, exec_lo, s11
	ds_store_b64 v1, v[6:7]
	s_wait_dscnt 0x0
	s_barrier_signal -1
	s_barrier_wait -1
	s_cbranch_vccz .LBB98_17
; %bb.8:
	v_cmp_eq_u16_e32 vcc_lo, 0, v8
	s_and_saveexec_b32 s0, vcc_lo
	s_cbranch_execz .LBB98_10
; %bb.9:
	ds_load_2addr_b64 v[10:13], v1 offset1:4
	s_wait_dscnt 0x0
	v_pk_add_f32 v[10:11], v[12:13], v[10:11]
	ds_store_b64 v1, v[10:11]
.LBB98_10:
	s_or_b32 exec_lo, exec_lo, s0
	s_delay_alu instid0(SALU_CYCLE_1)
	s_mov_b32 s1, exec_lo
	s_wait_dscnt 0x0
	s_barrier_signal -1
	s_barrier_wait -1
	v_cmpx_gt_u16_e32 2, v8
	s_cbranch_execz .LBB98_12
; %bb.11:
	ds_load_2addr_b64 v[8:11], v1 offset1:2
	s_wait_dscnt 0x0
	v_pk_add_f32 v[8:9], v[10:11], v[8:9]
	ds_store_b64 v1, v[8:9]
.LBB98_12:
	s_or_b32 exec_lo, exec_lo, s1
	s_wait_dscnt 0x0
	s_barrier_signal -1
	s_barrier_wait -1
	s_and_saveexec_b32 s0, vcc_lo
	s_cbranch_execz .LBB98_14
; %bb.13:
	ds_load_2addr_b64 v[8:11], v1 offset1:1
	s_wait_dscnt 0x0
	v_pk_add_f32 v[8:9], v[10:11], v[8:9]
	ds_store_b64 v1, v[8:9]
.LBB98_14:
	s_or_b32 exec_lo, exec_lo, s0
	v_mov_b64_e32 v[8:9], v[6:7]
	s_mov_b32 s0, exec_lo
	s_wait_dscnt 0x0
	s_barrier_signal -1
	s_barrier_wait -1
	v_cmpx_gt_u32_e32 16, v0
; %bb.15:
	v_lshl_add_u32 v8, v0, 5, v1
	ds_load_b64 v[8:9], v8
; %bb.16:
	s_or_b32 exec_lo, exec_lo, s0
	v_cmp_gt_u32_e64 s0, 16, v0
	s_branch .LBB98_27
.LBB98_17:
                                        ; implicit-def: $vgpr8_vgpr9
	v_cmp_gt_u32_e64 s0, 16, v0
	s_cbranch_execz .LBB98_27
; %bb.18:
	v_cmp_lt_u32_e32 vcc_lo, 15, v0
	s_and_saveexec_b32 s1, s0
	s_cbranch_execz .LBB98_20
; %bb.19:
	s_wait_dscnt 0x0
	ds_load_2addr_stride64_b64 v[8:11], v1 offset1:1
	s_wait_dscnt 0x0
	v_pk_add_f32 v[8:9], v[10:11], v[8:9]
	ds_store_b64 v1, v[8:9]
.LBB98_20:
	s_or_b32 exec_lo, exec_lo, s1
	s_delay_alu instid0(SALU_CYCLE_1)
	s_mov_b32 s1, exec_lo
	s_wait_dscnt 0x0
	s_barrier_signal -1
	s_barrier_wait -1
	v_cmpx_gt_u32_e32 32, v0
	s_cbranch_execz .LBB98_22
; %bb.21:
	ds_load_2addr_b64 v[8:11], v1 offset1:32
	s_wait_dscnt 0x0
	v_pk_add_f32 v[8:9], v[10:11], v[8:9]
	ds_store_b64 v1, v[8:9]
.LBB98_22:
	s_or_b32 exec_lo, exec_lo, s1
	s_wait_dscnt 0x0
	s_and_saveexec_b32 s0, vcc_lo
	s_delay_alu instid0(SALU_CYCLE_1)
	s_xor_b32 s0, exec_lo, s0
; %bb.23:
                                        ; implicit-def: $vgpr1
; %bb.24:
	s_delay_alu instid0(SALU_CYCLE_1)
	s_and_not1_saveexec_b32 s0, s0
	s_cbranch_execz .LBB98_26
; %bb.25:
	ds_load_2addr_b64 v[6:9], v1 offset1:16
	s_wait_dscnt 0x0
	v_pk_add_f32 v[6:7], v[8:9], v[6:7]
	ds_store_b64 v1, v[6:7]
	s_wait_dscnt 0x0
	ds_load_b64 v[6:7], v1
.LBB98_26:
	s_or_b32 exec_lo, exec_lo, s0
	s_wait_dscnt 0x0
	v_mov_b64_e32 v[8:9], v[6:7]
.LBB98_27:
	v_cmp_gt_u32_e32 vcc_lo, 16, v0
	s_and_b32 exec_lo, exec_lo, vcc_lo
	s_cbranch_execz .LBB98_32
; %bb.28:
	v_cmp_eq_f32_e32 vcc_lo, 0, v4
	v_cmp_eq_f32_e64 s0, 0, v5
	v_xor_b32_e32 v6, 0x80000000, v3
	v_lshl_or_b32 v0, s8, 4, v0
	s_and_b32 s0, vcc_lo, s0
	s_delay_alu instid0(SALU_CYCLE_1) | instskip(NEXT) | instid1(SALU_CYCLE_1)
	s_and_saveexec_b32 s1, s0
	s_xor_b32 s0, exec_lo, s1
	s_cbranch_execz .LBB98_30
; %bb.29:
	v_mov_b32_e32 v7, v2
	s_wait_dscnt 0x0
	s_delay_alu instid0(VALU_DEP_1) | instskip(NEXT) | instid1(VALU_DEP_1)
	v_pk_mul_f32 v[4:5], v[8:9], v[6:7] op_sel:[1,0]
                                        ; implicit-def: $vgpr6
	v_pk_fma_f32 v[2:3], v[2:3], v[8:9], v[4:5] op_sel_hi:[1,0,1]
                                        ; implicit-def: $vgpr4_vgpr5
                                        ; implicit-def: $vgpr8_vgpr9
	global_store_b64 v0, v[2:3], s[2:3] scale_offset
                                        ; implicit-def: $vgpr0
                                        ; implicit-def: $vgpr2_vgpr3
.LBB98_30:
	s_wait_xcnt 0x0
	s_and_not1_saveexec_b32 s0, s0
	s_cbranch_execz .LBB98_32
; %bb.31:
	global_load_b64 v[10:11], v0, s[2:3] scale_offset
	v_mov_b32_e32 v7, v2
	s_wait_dscnt 0x0
	s_delay_alu instid0(VALU_DEP_1) | instskip(NEXT) | instid1(VALU_DEP_1)
	v_pk_mul_f32 v[6:7], v[8:9], v[6:7] op_sel:[1,0]
	v_pk_fma_f32 v[2:3], v[2:3], v[8:9], v[6:7] op_sel_hi:[1,0,1]
	v_xor_b32_e32 v6, 0x80000000, v5
	v_mov_b32_e32 v7, v4
	s_wait_loadcnt 0x0
	s_delay_alu instid0(VALU_DEP_3) | instskip(NEXT) | instid1(VALU_DEP_1)
	v_pk_fma_f32 v[2:3], v[4:5], v[10:11], v[2:3] op_sel_hi:[1,0,1]
	v_pk_fma_f32 v[2:3], v[6:7], v[10:11], v[2:3] op_sel:[0,1,0]
	global_store_b64 v0, v[2:3], s[2:3] scale_offset
.LBB98_32:
	s_endpgm
	.section	.rodata,"a",@progbits
	.p2align	6, 0x0
	.amdhsa_kernel _ZN9rocsparseL22gebsrmvn_mxn_16_kernelILj80ELj16ELj5E21rocsparse_complex_numIfEEEvi20rocsparse_direction_NS_24const_host_device_scalarIT2_EEPKiS8_PKS5_iiSA_S6_PS5_21rocsparse_index_base_b
		.amdhsa_group_segment_fixed_size 640
		.amdhsa_private_segment_fixed_size 0
		.amdhsa_kernarg_size 80
		.amdhsa_user_sgpr_count 2
		.amdhsa_user_sgpr_dispatch_ptr 0
		.amdhsa_user_sgpr_queue_ptr 0
		.amdhsa_user_sgpr_kernarg_segment_ptr 1
		.amdhsa_user_sgpr_dispatch_id 0
		.amdhsa_user_sgpr_kernarg_preload_length 0
		.amdhsa_user_sgpr_kernarg_preload_offset 0
		.amdhsa_user_sgpr_private_segment_size 0
		.amdhsa_wavefront_size32 1
		.amdhsa_uses_dynamic_stack 0
		.amdhsa_enable_private_segment 0
		.amdhsa_system_sgpr_workgroup_id_x 1
		.amdhsa_system_sgpr_workgroup_id_y 0
		.amdhsa_system_sgpr_workgroup_id_z 0
		.amdhsa_system_sgpr_workgroup_info 0
		.amdhsa_system_vgpr_workitem_id 0
		.amdhsa_next_free_vgpr 16
		.amdhsa_next_free_sgpr 16
		.amdhsa_named_barrier_count 0
		.amdhsa_reserve_vcc 1
		.amdhsa_float_round_mode_32 0
		.amdhsa_float_round_mode_16_64 0
		.amdhsa_float_denorm_mode_32 3
		.amdhsa_float_denorm_mode_16_64 3
		.amdhsa_fp16_overflow 0
		.amdhsa_memory_ordered 1
		.amdhsa_forward_progress 1
		.amdhsa_inst_pref_size 10
		.amdhsa_round_robin_scheduling 0
		.amdhsa_exception_fp_ieee_invalid_op 0
		.amdhsa_exception_fp_denorm_src 0
		.amdhsa_exception_fp_ieee_div_zero 0
		.amdhsa_exception_fp_ieee_overflow 0
		.amdhsa_exception_fp_ieee_underflow 0
		.amdhsa_exception_fp_ieee_inexact 0
		.amdhsa_exception_int_div_zero 0
	.end_amdhsa_kernel
	.section	.text._ZN9rocsparseL22gebsrmvn_mxn_16_kernelILj80ELj16ELj5E21rocsparse_complex_numIfEEEvi20rocsparse_direction_NS_24const_host_device_scalarIT2_EEPKiS8_PKS5_iiSA_S6_PS5_21rocsparse_index_base_b,"axG",@progbits,_ZN9rocsparseL22gebsrmvn_mxn_16_kernelILj80ELj16ELj5E21rocsparse_complex_numIfEEEvi20rocsparse_direction_NS_24const_host_device_scalarIT2_EEPKiS8_PKS5_iiSA_S6_PS5_21rocsparse_index_base_b,comdat
.Lfunc_end98:
	.size	_ZN9rocsparseL22gebsrmvn_mxn_16_kernelILj80ELj16ELj5E21rocsparse_complex_numIfEEEvi20rocsparse_direction_NS_24const_host_device_scalarIT2_EEPKiS8_PKS5_iiSA_S6_PS5_21rocsparse_index_base_b, .Lfunc_end98-_ZN9rocsparseL22gebsrmvn_mxn_16_kernelILj80ELj16ELj5E21rocsparse_complex_numIfEEEvi20rocsparse_direction_NS_24const_host_device_scalarIT2_EEPKiS8_PKS5_iiSA_S6_PS5_21rocsparse_index_base_b
                                        ; -- End function
	.set _ZN9rocsparseL22gebsrmvn_mxn_16_kernelILj80ELj16ELj5E21rocsparse_complex_numIfEEEvi20rocsparse_direction_NS_24const_host_device_scalarIT2_EEPKiS8_PKS5_iiSA_S6_PS5_21rocsparse_index_base_b.num_vgpr, 16
	.set _ZN9rocsparseL22gebsrmvn_mxn_16_kernelILj80ELj16ELj5E21rocsparse_complex_numIfEEEvi20rocsparse_direction_NS_24const_host_device_scalarIT2_EEPKiS8_PKS5_iiSA_S6_PS5_21rocsparse_index_base_b.num_agpr, 0
	.set _ZN9rocsparseL22gebsrmvn_mxn_16_kernelILj80ELj16ELj5E21rocsparse_complex_numIfEEEvi20rocsparse_direction_NS_24const_host_device_scalarIT2_EEPKiS8_PKS5_iiSA_S6_PS5_21rocsparse_index_base_b.numbered_sgpr, 16
	.set _ZN9rocsparseL22gebsrmvn_mxn_16_kernelILj80ELj16ELj5E21rocsparse_complex_numIfEEEvi20rocsparse_direction_NS_24const_host_device_scalarIT2_EEPKiS8_PKS5_iiSA_S6_PS5_21rocsparse_index_base_b.num_named_barrier, 0
	.set _ZN9rocsparseL22gebsrmvn_mxn_16_kernelILj80ELj16ELj5E21rocsparse_complex_numIfEEEvi20rocsparse_direction_NS_24const_host_device_scalarIT2_EEPKiS8_PKS5_iiSA_S6_PS5_21rocsparse_index_base_b.private_seg_size, 0
	.set _ZN9rocsparseL22gebsrmvn_mxn_16_kernelILj80ELj16ELj5E21rocsparse_complex_numIfEEEvi20rocsparse_direction_NS_24const_host_device_scalarIT2_EEPKiS8_PKS5_iiSA_S6_PS5_21rocsparse_index_base_b.uses_vcc, 1
	.set _ZN9rocsparseL22gebsrmvn_mxn_16_kernelILj80ELj16ELj5E21rocsparse_complex_numIfEEEvi20rocsparse_direction_NS_24const_host_device_scalarIT2_EEPKiS8_PKS5_iiSA_S6_PS5_21rocsparse_index_base_b.uses_flat_scratch, 1
	.set _ZN9rocsparseL22gebsrmvn_mxn_16_kernelILj80ELj16ELj5E21rocsparse_complex_numIfEEEvi20rocsparse_direction_NS_24const_host_device_scalarIT2_EEPKiS8_PKS5_iiSA_S6_PS5_21rocsparse_index_base_b.has_dyn_sized_stack, 0
	.set _ZN9rocsparseL22gebsrmvn_mxn_16_kernelILj80ELj16ELj5E21rocsparse_complex_numIfEEEvi20rocsparse_direction_NS_24const_host_device_scalarIT2_EEPKiS8_PKS5_iiSA_S6_PS5_21rocsparse_index_base_b.has_recursion, 0
	.set _ZN9rocsparseL22gebsrmvn_mxn_16_kernelILj80ELj16ELj5E21rocsparse_complex_numIfEEEvi20rocsparse_direction_NS_24const_host_device_scalarIT2_EEPKiS8_PKS5_iiSA_S6_PS5_21rocsparse_index_base_b.has_indirect_call, 0
	.section	.AMDGPU.csdata,"",@progbits
; Kernel info:
; codeLenInByte = 1256
; TotalNumSgprs: 18
; NumVgprs: 16
; ScratchSize: 0
; MemoryBound: 0
; FloatMode: 240
; IeeeMode: 1
; LDSByteSize: 640 bytes/workgroup (compile time only)
; SGPRBlocks: 0
; VGPRBlocks: 0
; NumSGPRsForWavesPerEU: 18
; NumVGPRsForWavesPerEU: 16
; NamedBarCnt: 0
; Occupancy: 16
; WaveLimiterHint : 1
; COMPUTE_PGM_RSRC2:SCRATCH_EN: 0
; COMPUTE_PGM_RSRC2:USER_SGPR: 2
; COMPUTE_PGM_RSRC2:TRAP_HANDLER: 0
; COMPUTE_PGM_RSRC2:TGID_X_EN: 1
; COMPUTE_PGM_RSRC2:TGID_Y_EN: 0
; COMPUTE_PGM_RSRC2:TGID_Z_EN: 0
; COMPUTE_PGM_RSRC2:TIDIG_COMP_CNT: 0
	.section	.text._ZN9rocsparseL22gebsrmvn_mxn_16_kernelILj96ELj16ELj6E21rocsparse_complex_numIfEEEvi20rocsparse_direction_NS_24const_host_device_scalarIT2_EEPKiS8_PKS5_iiSA_S6_PS5_21rocsparse_index_base_b,"axG",@progbits,_ZN9rocsparseL22gebsrmvn_mxn_16_kernelILj96ELj16ELj6E21rocsparse_complex_numIfEEEvi20rocsparse_direction_NS_24const_host_device_scalarIT2_EEPKiS8_PKS5_iiSA_S6_PS5_21rocsparse_index_base_b,comdat
	.globl	_ZN9rocsparseL22gebsrmvn_mxn_16_kernelILj96ELj16ELj6E21rocsparse_complex_numIfEEEvi20rocsparse_direction_NS_24const_host_device_scalarIT2_EEPKiS8_PKS5_iiSA_S6_PS5_21rocsparse_index_base_b ; -- Begin function _ZN9rocsparseL22gebsrmvn_mxn_16_kernelILj96ELj16ELj6E21rocsparse_complex_numIfEEEvi20rocsparse_direction_NS_24const_host_device_scalarIT2_EEPKiS8_PKS5_iiSA_S6_PS5_21rocsparse_index_base_b
	.p2align	8
	.type	_ZN9rocsparseL22gebsrmvn_mxn_16_kernelILj96ELj16ELj6E21rocsparse_complex_numIfEEEvi20rocsparse_direction_NS_24const_host_device_scalarIT2_EEPKiS8_PKS5_iiSA_S6_PS5_21rocsparse_index_base_b,@function
_ZN9rocsparseL22gebsrmvn_mxn_16_kernelILj96ELj16ELj6E21rocsparse_complex_numIfEEEvi20rocsparse_direction_NS_24const_host_device_scalarIT2_EEPKiS8_PKS5_iiSA_S6_PS5_21rocsparse_index_base_b: ; @_ZN9rocsparseL22gebsrmvn_mxn_16_kernelILj96ELj16ELj6E21rocsparse_complex_numIfEEEvi20rocsparse_direction_NS_24const_host_device_scalarIT2_EEPKiS8_PKS5_iiSA_S6_PS5_21rocsparse_index_base_b
; %bb.0:
	s_clause 0x2
	s_load_b64 s[10:11], s[0:1], 0x48
	s_load_b64 s[2:3], s[0:1], 0x8
	s_load_b64 s[4:5], s[0:1], 0x38
	v_mov_b32_e32 v1, 0
	s_add_nc_u64 s[6:7], s[0:1], 8
	s_add_nc_u64 s[8:9], s[0:1], 56
	s_wait_kmcnt 0x0
	s_bitcmp1_b32 s11, 0
	s_cselect_b32 s3, s7, s3
	s_cselect_b32 s2, s6, s2
	;; [unrolled: 1-line block ×4, first 2 shown]
	s_clause 0x1
	flat_load_b64 v[2:3], v1, s[2:3]
	flat_load_b64 v[4:5], v1, s[4:5]
	s_wait_loadcnt_dscnt 0x101
	v_cmp_eq_f32_e32 vcc_lo, 0, v2
	v_cmp_eq_f32_e64 s2, 0, v3
	s_wait_loadcnt_dscnt 0x0
	v_cmp_eq_f32_e64 s3, 1.0, v4
	v_cmp_eq_f32_e64 s4, 0, v5
	s_and_b32 s2, vcc_lo, s2
	s_and_b32 s3, s3, s4
	s_delay_alu instid0(SALU_CYCLE_1) | instskip(NEXT) | instid1(SALU_CYCLE_1)
	s_and_b32 s2, s2, s3
	s_xor_b32 s2, s2, -1
	s_delay_alu instid0(SALU_CYCLE_1)
	s_and_saveexec_b32 s3, s2
	s_cbranch_execz .LBB99_32
; %bb.1:
	s_clause 0x2
	s_load_b64 s[2:3], s[0:1], 0x40
	s_load_b32 s6, s[0:1], 0x4
	s_load_b64 s[4:5], s[0:1], 0x10
	s_bfe_u32 s7, ttmp6, 0x4000c
	s_and_b32 s8, ttmp6, 15
	s_add_co_i32 s7, s7, 1
	s_getreg_b32 s9, hwreg(HW_REG_IB_STS2, 6, 4)
	s_mul_i32 s7, ttmp9, s7
	v_mul_u32_u24_e32 v1, 0x2aab, v0
	s_add_co_i32 s8, s8, s7
	s_cmp_eq_u32 s9, 0
	s_cselect_b32 s8, ttmp9, s8
	s_delay_alu instid0(VALU_DEP_1) | instskip(NEXT) | instid1(VALU_DEP_1)
	v_lshrrev_b32_e32 v1, 16, v1
	v_mul_lo_u16 v1, v1, 6
	s_wait_kmcnt 0x0
	s_cmp_eq_u32 s6, 1
	s_delay_alu instid0(VALU_DEP_1) | instskip(SKIP_4) | instid1(SALU_CYCLE_1)
	v_sub_nc_u16 v8, v0, v1
	s_cselect_b32 vcc_lo, -1, 0
	s_cmp_lg_u32 s6, 1
	s_cselect_b32 s11, -1, 0
	s_ashr_i32 s9, s8, 31
	s_lshl_b64 s[6:7], s[8:9], 2
	s_delay_alu instid0(SALU_CYCLE_1)
	s_add_nc_u64 s[4:5], s[4:5], s[6:7]
	s_load_b64 s[14:15], s[4:5], 0x0
	s_wait_kmcnt 0x0
	s_cmp_ge_i32 s14, s15
	s_cbranch_scc1 .LBB99_6
; %bb.2:
	v_lshrrev_b32_e32 v1, 4, v0
	s_clause 0x1
	s_load_b128 s[4:7], s[0:1], 0x18
	s_load_b64 s[12:13], s[0:1], 0x30
	v_mad_u32 v10, 0x60, s14, v0
	v_and_b32_e32 v7, 0xffff, v0
	v_and_b32_e32 v9, 0xffff, v8
	v_mul_lo_u16 v6, v1, 43
	s_wait_xcnt 0x0
	s_mul_i32 s0, s10, 0x60
	s_sub_co_i32 s1, s14, s10
	v_mul_u32_u24_e32 v11, 0x2ab, v7
	v_lshrrev_b16 v6, 8, v6
	v_subrev_nc_u32_e32 v10, s0, v10
	s_sub_co_i32 s0, s15, s10
	s_delay_alu instid0(VALU_DEP_2) | instskip(NEXT) | instid1(VALU_DEP_1)
	v_mul_lo_u16 v6, v6, 6
	v_sub_nc_u16 v1, v1, v6
	v_mov_b64_e32 v[6:7], 0
	s_delay_alu instid0(VALU_DEP_2) | instskip(NEXT) | instid1(VALU_DEP_1)
	v_and_b32_e32 v12, 0xff, v1
	v_dual_lshrrev_b32 v1, 16, v11 :: v_dual_cndmask_b32 v9, v9, v12, vcc_lo
	s_branch .LBB99_4
.LBB99_3:                               ;   in Loop: Header=BB99_4 Depth=1
	s_or_b32 exec_lo, exec_lo, s9
	v_add_nc_u32_e32 v10, 0x60, v10
	s_add_co_i32 s1, s1, 1
	s_delay_alu instid0(SALU_CYCLE_1)
	s_cmp_ge_i32 s1, s0
	s_cbranch_scc1 .LBB99_7
.LBB99_4:                               ; =>This Inner Loop Header: Depth=1
	s_delay_alu instid0(VALU_DEP_1) | instskip(SKIP_1) | instid1(VALU_DEP_1)
	v_add_nc_u32_e32 v11, s1, v1
	s_mov_b32 s9, exec_lo
	v_cmpx_gt_i32_e64 s0, v11
	s_cbranch_execz .LBB99_3
; %bb.5:                                ;   in Loop: Header=BB99_4 Depth=1
	s_wait_kmcnt 0x0
	global_load_b32 v11, v11, s[4:5] scale_offset
	s_wait_loadcnt 0x0
	v_subrev_nc_u32_e32 v11, s10, v11
	s_delay_alu instid0(VALU_DEP_1) | instskip(SKIP_4) | instid1(VALU_DEP_1)
	v_mad_u32 v11, v11, 6, v9
	global_load_b64 v[12:13], v11, s[12:13] scale_offset
	global_load_b64 v[14:15], v10, s[6:7] scale_offset
	s_wait_loadcnt 0x0
	v_pk_fma_f32 v[6:7], v[14:15], v[12:13], v[6:7] op_sel_hi:[1,0,1]
	v_pk_fma_f32 v[6:7], v[14:15], v[12:13], v[6:7] op_sel:[1,1,0] op_sel_hi:[0,1,1] neg_lo:[1,0,0]
	s_branch .LBB99_3
.LBB99_6:
	v_mov_b64_e32 v[6:7], 0
.LBB99_7:
	v_lshlrev_b32_e32 v1, 3, v0
	s_and_b32 vcc_lo, exec_lo, s11
	ds_store_b64 v1, v[6:7]
	s_wait_dscnt 0x0
	s_barrier_signal -1
	s_barrier_wait -1
	s_cbranch_vccz .LBB99_17
; %bb.8:
	v_cmp_gt_u16_e32 vcc_lo, 2, v8
	s_and_saveexec_b32 s0, vcc_lo
	s_cbranch_execz .LBB99_10
; %bb.9:
	ds_load_2addr_b64 v[10:13], v1 offset1:4
	s_wait_dscnt 0x0
	v_pk_add_f32 v[10:11], v[12:13], v[10:11]
	ds_store_b64 v1, v[10:11]
.LBB99_10:
	s_or_b32 exec_lo, exec_lo, s0
	s_wait_dscnt 0x0
	s_barrier_signal -1
	s_barrier_wait -1
	s_and_saveexec_b32 s0, vcc_lo
	s_cbranch_execz .LBB99_12
; %bb.11:
	ds_load_2addr_b64 v[10:13], v1 offset1:2
	s_wait_dscnt 0x0
	v_pk_add_f32 v[10:11], v[12:13], v[10:11]
	ds_store_b64 v1, v[10:11]
.LBB99_12:
	s_or_b32 exec_lo, exec_lo, s0
	s_delay_alu instid0(SALU_CYCLE_1)
	s_mov_b32 s0, exec_lo
	s_wait_dscnt 0x0
	s_barrier_signal -1
	s_barrier_wait -1
	v_cmpx_eq_u16_e32 0, v8
	s_cbranch_execz .LBB99_14
; %bb.13:
	ds_load_2addr_b64 v[8:11], v1 offset1:1
	s_wait_dscnt 0x0
	v_pk_add_f32 v[8:9], v[10:11], v[8:9]
	ds_store_b64 v1, v[8:9]
.LBB99_14:
	s_or_b32 exec_lo, exec_lo, s0
	v_mov_b64_e32 v[8:9], v[6:7]
	s_mov_b32 s0, exec_lo
	s_wait_dscnt 0x0
	s_barrier_signal -1
	s_barrier_wait -1
	v_cmpx_gt_u32_e32 16, v0
; %bb.15:
	v_mad_u32_u24 v8, v0, 40, v1
	ds_load_b64 v[8:9], v8
; %bb.16:
	s_or_b32 exec_lo, exec_lo, s0
	s_branch .LBB99_27
.LBB99_17:
                                        ; implicit-def: $vgpr8_vgpr9
	s_cbranch_execz .LBB99_27
; %bb.18:
	v_cmp_gt_u32_e32 vcc_lo, 32, v0
	s_and_saveexec_b32 s0, vcc_lo
	s_cbranch_execz .LBB99_20
; %bb.19:
	s_wait_dscnt 0x0
	ds_load_2addr_stride64_b64 v[8:11], v1 offset1:1
	s_wait_dscnt 0x0
	v_pk_add_f32 v[8:9], v[10:11], v[8:9]
	ds_store_b64 v1, v[8:9]
.LBB99_20:
	s_or_b32 exec_lo, exec_lo, s0
	s_wait_dscnt 0x0
	s_barrier_signal -1
	s_barrier_wait -1
	s_and_saveexec_b32 s0, vcc_lo
	s_cbranch_execz .LBB99_22
; %bb.21:
	ds_load_2addr_b64 v[8:11], v1 offset1:32
	s_wait_dscnt 0x0
	v_pk_add_f32 v[8:9], v[10:11], v[8:9]
	ds_store_b64 v1, v[8:9]
.LBB99_22:
	s_or_b32 exec_lo, exec_lo, s0
	s_delay_alu instid0(SALU_CYCLE_1)
	s_mov_b32 s0, exec_lo
	s_wait_dscnt 0x0
	v_cmpx_lt_u32_e32 15, v0
	s_xor_b32 s0, exec_lo, s0
; %bb.23:
                                        ; implicit-def: $vgpr1
; %bb.24:
	s_delay_alu instid0(SALU_CYCLE_1)
	s_and_not1_saveexec_b32 s0, s0
	s_cbranch_execz .LBB99_26
; %bb.25:
	ds_load_2addr_b64 v[6:9], v1 offset1:16
	s_wait_dscnt 0x0
	v_pk_add_f32 v[6:7], v[8:9], v[6:7]
	ds_store_b64 v1, v[6:7]
	s_wait_dscnt 0x0
	ds_load_b64 v[6:7], v1
.LBB99_26:
	s_or_b32 exec_lo, exec_lo, s0
	s_wait_dscnt 0x0
	v_mov_b64_e32 v[8:9], v[6:7]
.LBB99_27:
	v_cmp_gt_u32_e32 vcc_lo, 16, v0
	s_and_b32 exec_lo, exec_lo, vcc_lo
	s_cbranch_execz .LBB99_32
; %bb.28:
	v_cmp_eq_f32_e32 vcc_lo, 0, v4
	v_cmp_eq_f32_e64 s0, 0, v5
	v_xor_b32_e32 v6, 0x80000000, v3
	v_lshl_or_b32 v0, s8, 4, v0
	s_and_b32 s0, vcc_lo, s0
	s_delay_alu instid0(SALU_CYCLE_1) | instskip(NEXT) | instid1(SALU_CYCLE_1)
	s_and_saveexec_b32 s1, s0
	s_xor_b32 s0, exec_lo, s1
	s_cbranch_execz .LBB99_30
; %bb.29:
	v_mov_b32_e32 v7, v2
	s_wait_dscnt 0x0
	s_delay_alu instid0(VALU_DEP_1) | instskip(NEXT) | instid1(VALU_DEP_1)
	v_pk_mul_f32 v[4:5], v[8:9], v[6:7] op_sel:[1,0]
                                        ; implicit-def: $vgpr6
	v_pk_fma_f32 v[2:3], v[2:3], v[8:9], v[4:5] op_sel_hi:[1,0,1]
                                        ; implicit-def: $vgpr4_vgpr5
                                        ; implicit-def: $vgpr8_vgpr9
	global_store_b64 v0, v[2:3], s[2:3] scale_offset
                                        ; implicit-def: $vgpr0
                                        ; implicit-def: $vgpr2_vgpr3
.LBB99_30:
	s_wait_xcnt 0x0
	s_and_not1_saveexec_b32 s0, s0
	s_cbranch_execz .LBB99_32
; %bb.31:
	global_load_b64 v[10:11], v0, s[2:3] scale_offset
	v_mov_b32_e32 v7, v2
	s_wait_dscnt 0x0
	s_delay_alu instid0(VALU_DEP_1) | instskip(NEXT) | instid1(VALU_DEP_1)
	v_pk_mul_f32 v[6:7], v[8:9], v[6:7] op_sel:[1,0]
	v_pk_fma_f32 v[2:3], v[2:3], v[8:9], v[6:7] op_sel_hi:[1,0,1]
	v_xor_b32_e32 v6, 0x80000000, v5
	v_mov_b32_e32 v7, v4
	s_wait_loadcnt 0x0
	s_delay_alu instid0(VALU_DEP_3) | instskip(NEXT) | instid1(VALU_DEP_1)
	v_pk_fma_f32 v[2:3], v[4:5], v[10:11], v[2:3] op_sel_hi:[1,0,1]
	v_pk_fma_f32 v[2:3], v[6:7], v[10:11], v[2:3] op_sel:[0,1,0]
	global_store_b64 v0, v[2:3], s[2:3] scale_offset
.LBB99_32:
	s_endpgm
	.section	.rodata,"a",@progbits
	.p2align	6, 0x0
	.amdhsa_kernel _ZN9rocsparseL22gebsrmvn_mxn_16_kernelILj96ELj16ELj6E21rocsparse_complex_numIfEEEvi20rocsparse_direction_NS_24const_host_device_scalarIT2_EEPKiS8_PKS5_iiSA_S6_PS5_21rocsparse_index_base_b
		.amdhsa_group_segment_fixed_size 768
		.amdhsa_private_segment_fixed_size 0
		.amdhsa_kernarg_size 80
		.amdhsa_user_sgpr_count 2
		.amdhsa_user_sgpr_dispatch_ptr 0
		.amdhsa_user_sgpr_queue_ptr 0
		.amdhsa_user_sgpr_kernarg_segment_ptr 1
		.amdhsa_user_sgpr_dispatch_id 0
		.amdhsa_user_sgpr_kernarg_preload_length 0
		.amdhsa_user_sgpr_kernarg_preload_offset 0
		.amdhsa_user_sgpr_private_segment_size 0
		.amdhsa_wavefront_size32 1
		.amdhsa_uses_dynamic_stack 0
		.amdhsa_enable_private_segment 0
		.amdhsa_system_sgpr_workgroup_id_x 1
		.amdhsa_system_sgpr_workgroup_id_y 0
		.amdhsa_system_sgpr_workgroup_id_z 0
		.amdhsa_system_sgpr_workgroup_info 0
		.amdhsa_system_vgpr_workitem_id 0
		.amdhsa_next_free_vgpr 16
		.amdhsa_next_free_sgpr 16
		.amdhsa_named_barrier_count 0
		.amdhsa_reserve_vcc 1
		.amdhsa_float_round_mode_32 0
		.amdhsa_float_round_mode_16_64 0
		.amdhsa_float_denorm_mode_32 3
		.amdhsa_float_denorm_mode_16_64 3
		.amdhsa_fp16_overflow 0
		.amdhsa_memory_ordered 1
		.amdhsa_forward_progress 1
		.amdhsa_inst_pref_size 10
		.amdhsa_round_robin_scheduling 0
		.amdhsa_exception_fp_ieee_invalid_op 0
		.amdhsa_exception_fp_denorm_src 0
		.amdhsa_exception_fp_ieee_div_zero 0
		.amdhsa_exception_fp_ieee_overflow 0
		.amdhsa_exception_fp_ieee_underflow 0
		.amdhsa_exception_fp_ieee_inexact 0
		.amdhsa_exception_int_div_zero 0
	.end_amdhsa_kernel
	.section	.text._ZN9rocsparseL22gebsrmvn_mxn_16_kernelILj96ELj16ELj6E21rocsparse_complex_numIfEEEvi20rocsparse_direction_NS_24const_host_device_scalarIT2_EEPKiS8_PKS5_iiSA_S6_PS5_21rocsparse_index_base_b,"axG",@progbits,_ZN9rocsparseL22gebsrmvn_mxn_16_kernelILj96ELj16ELj6E21rocsparse_complex_numIfEEEvi20rocsparse_direction_NS_24const_host_device_scalarIT2_EEPKiS8_PKS5_iiSA_S6_PS5_21rocsparse_index_base_b,comdat
.Lfunc_end99:
	.size	_ZN9rocsparseL22gebsrmvn_mxn_16_kernelILj96ELj16ELj6E21rocsparse_complex_numIfEEEvi20rocsparse_direction_NS_24const_host_device_scalarIT2_EEPKiS8_PKS5_iiSA_S6_PS5_21rocsparse_index_base_b, .Lfunc_end99-_ZN9rocsparseL22gebsrmvn_mxn_16_kernelILj96ELj16ELj6E21rocsparse_complex_numIfEEEvi20rocsparse_direction_NS_24const_host_device_scalarIT2_EEPKiS8_PKS5_iiSA_S6_PS5_21rocsparse_index_base_b
                                        ; -- End function
	.set _ZN9rocsparseL22gebsrmvn_mxn_16_kernelILj96ELj16ELj6E21rocsparse_complex_numIfEEEvi20rocsparse_direction_NS_24const_host_device_scalarIT2_EEPKiS8_PKS5_iiSA_S6_PS5_21rocsparse_index_base_b.num_vgpr, 16
	.set _ZN9rocsparseL22gebsrmvn_mxn_16_kernelILj96ELj16ELj6E21rocsparse_complex_numIfEEEvi20rocsparse_direction_NS_24const_host_device_scalarIT2_EEPKiS8_PKS5_iiSA_S6_PS5_21rocsparse_index_base_b.num_agpr, 0
	.set _ZN9rocsparseL22gebsrmvn_mxn_16_kernelILj96ELj16ELj6E21rocsparse_complex_numIfEEEvi20rocsparse_direction_NS_24const_host_device_scalarIT2_EEPKiS8_PKS5_iiSA_S6_PS5_21rocsparse_index_base_b.numbered_sgpr, 16
	.set _ZN9rocsparseL22gebsrmvn_mxn_16_kernelILj96ELj16ELj6E21rocsparse_complex_numIfEEEvi20rocsparse_direction_NS_24const_host_device_scalarIT2_EEPKiS8_PKS5_iiSA_S6_PS5_21rocsparse_index_base_b.num_named_barrier, 0
	.set _ZN9rocsparseL22gebsrmvn_mxn_16_kernelILj96ELj16ELj6E21rocsparse_complex_numIfEEEvi20rocsparse_direction_NS_24const_host_device_scalarIT2_EEPKiS8_PKS5_iiSA_S6_PS5_21rocsparse_index_base_b.private_seg_size, 0
	.set _ZN9rocsparseL22gebsrmvn_mxn_16_kernelILj96ELj16ELj6E21rocsparse_complex_numIfEEEvi20rocsparse_direction_NS_24const_host_device_scalarIT2_EEPKiS8_PKS5_iiSA_S6_PS5_21rocsparse_index_base_b.uses_vcc, 1
	.set _ZN9rocsparseL22gebsrmvn_mxn_16_kernelILj96ELj16ELj6E21rocsparse_complex_numIfEEEvi20rocsparse_direction_NS_24const_host_device_scalarIT2_EEPKiS8_PKS5_iiSA_S6_PS5_21rocsparse_index_base_b.uses_flat_scratch, 1
	.set _ZN9rocsparseL22gebsrmvn_mxn_16_kernelILj96ELj16ELj6E21rocsparse_complex_numIfEEEvi20rocsparse_direction_NS_24const_host_device_scalarIT2_EEPKiS8_PKS5_iiSA_S6_PS5_21rocsparse_index_base_b.has_dyn_sized_stack, 0
	.set _ZN9rocsparseL22gebsrmvn_mxn_16_kernelILj96ELj16ELj6E21rocsparse_complex_numIfEEEvi20rocsparse_direction_NS_24const_host_device_scalarIT2_EEPKiS8_PKS5_iiSA_S6_PS5_21rocsparse_index_base_b.has_recursion, 0
	.set _ZN9rocsparseL22gebsrmvn_mxn_16_kernelILj96ELj16ELj6E21rocsparse_complex_numIfEEEvi20rocsparse_direction_NS_24const_host_device_scalarIT2_EEPKiS8_PKS5_iiSA_S6_PS5_21rocsparse_index_base_b.has_indirect_call, 0
	.section	.AMDGPU.csdata,"",@progbits
; Kernel info:
; codeLenInByte = 1236
; TotalNumSgprs: 18
; NumVgprs: 16
; ScratchSize: 0
; MemoryBound: 0
; FloatMode: 240
; IeeeMode: 1
; LDSByteSize: 768 bytes/workgroup (compile time only)
; SGPRBlocks: 0
; VGPRBlocks: 0
; NumSGPRsForWavesPerEU: 18
; NumVGPRsForWavesPerEU: 16
; NamedBarCnt: 0
; Occupancy: 16
; WaveLimiterHint : 1
; COMPUTE_PGM_RSRC2:SCRATCH_EN: 0
; COMPUTE_PGM_RSRC2:USER_SGPR: 2
; COMPUTE_PGM_RSRC2:TRAP_HANDLER: 0
; COMPUTE_PGM_RSRC2:TGID_X_EN: 1
; COMPUTE_PGM_RSRC2:TGID_Y_EN: 0
; COMPUTE_PGM_RSRC2:TGID_Z_EN: 0
; COMPUTE_PGM_RSRC2:TIDIG_COMP_CNT: 0
	.section	.text._ZN9rocsparseL22gebsrmvn_mxn_16_kernelILj112ELj16ELj7E21rocsparse_complex_numIfEEEvi20rocsparse_direction_NS_24const_host_device_scalarIT2_EEPKiS8_PKS5_iiSA_S6_PS5_21rocsparse_index_base_b,"axG",@progbits,_ZN9rocsparseL22gebsrmvn_mxn_16_kernelILj112ELj16ELj7E21rocsparse_complex_numIfEEEvi20rocsparse_direction_NS_24const_host_device_scalarIT2_EEPKiS8_PKS5_iiSA_S6_PS5_21rocsparse_index_base_b,comdat
	.globl	_ZN9rocsparseL22gebsrmvn_mxn_16_kernelILj112ELj16ELj7E21rocsparse_complex_numIfEEEvi20rocsparse_direction_NS_24const_host_device_scalarIT2_EEPKiS8_PKS5_iiSA_S6_PS5_21rocsparse_index_base_b ; -- Begin function _ZN9rocsparseL22gebsrmvn_mxn_16_kernelILj112ELj16ELj7E21rocsparse_complex_numIfEEEvi20rocsparse_direction_NS_24const_host_device_scalarIT2_EEPKiS8_PKS5_iiSA_S6_PS5_21rocsparse_index_base_b
	.p2align	8
	.type	_ZN9rocsparseL22gebsrmvn_mxn_16_kernelILj112ELj16ELj7E21rocsparse_complex_numIfEEEvi20rocsparse_direction_NS_24const_host_device_scalarIT2_EEPKiS8_PKS5_iiSA_S6_PS5_21rocsparse_index_base_b,@function
_ZN9rocsparseL22gebsrmvn_mxn_16_kernelILj112ELj16ELj7E21rocsparse_complex_numIfEEEvi20rocsparse_direction_NS_24const_host_device_scalarIT2_EEPKiS8_PKS5_iiSA_S6_PS5_21rocsparse_index_base_b: ; @_ZN9rocsparseL22gebsrmvn_mxn_16_kernelILj112ELj16ELj7E21rocsparse_complex_numIfEEEvi20rocsparse_direction_NS_24const_host_device_scalarIT2_EEPKiS8_PKS5_iiSA_S6_PS5_21rocsparse_index_base_b
; %bb.0:
	s_clause 0x2
	s_load_b64 s[10:11], s[0:1], 0x48
	s_load_b64 s[2:3], s[0:1], 0x8
	;; [unrolled: 1-line block ×3, first 2 shown]
	v_mov_b32_e32 v1, 0
	s_add_nc_u64 s[6:7], s[0:1], 8
	s_add_nc_u64 s[8:9], s[0:1], 56
	s_wait_kmcnt 0x0
	s_bitcmp1_b32 s11, 0
	s_cselect_b32 s3, s7, s3
	s_cselect_b32 s2, s6, s2
	;; [unrolled: 1-line block ×4, first 2 shown]
	s_clause 0x1
	flat_load_b64 v[2:3], v1, s[2:3]
	flat_load_b64 v[4:5], v1, s[4:5]
	s_wait_loadcnt_dscnt 0x101
	v_cmp_eq_f32_e32 vcc_lo, 0, v2
	v_cmp_eq_f32_e64 s2, 0, v3
	s_wait_loadcnt_dscnt 0x0
	v_cmp_eq_f32_e64 s3, 1.0, v4
	v_cmp_eq_f32_e64 s4, 0, v5
	s_and_b32 s2, vcc_lo, s2
	s_and_b32 s3, s3, s4
	s_delay_alu instid0(SALU_CYCLE_1) | instskip(NEXT) | instid1(SALU_CYCLE_1)
	s_and_b32 s2, s2, s3
	s_xor_b32 s2, s2, -1
	s_delay_alu instid0(SALU_CYCLE_1)
	s_and_saveexec_b32 s3, s2
	s_cbranch_execz .LBB100_32
; %bb.1:
	s_clause 0x2
	s_load_b64 s[2:3], s[0:1], 0x40
	s_load_b32 s6, s[0:1], 0x4
	s_load_b64 s[4:5], s[0:1], 0x10
	s_bfe_u32 s7, ttmp6, 0x4000c
	s_and_b32 s8, ttmp6, 15
	s_add_co_i32 s7, s7, 1
	s_getreg_b32 s9, hwreg(HW_REG_IB_STS2, 6, 4)
	s_mul_i32 s7, ttmp9, s7
	v_mul_u32_u24_e32 v1, 0x2493, v0
	s_add_co_i32 s8, s8, s7
	s_cmp_eq_u32 s9, 0
	s_cselect_b32 s8, ttmp9, s8
	s_delay_alu instid0(VALU_DEP_1) | instskip(NEXT) | instid1(VALU_DEP_1)
	v_lshrrev_b32_e32 v1, 16, v1
	v_mul_lo_u16 v1, v1, 7
	s_wait_kmcnt 0x0
	s_cmp_eq_u32 s6, 1
	s_delay_alu instid0(VALU_DEP_1) | instskip(SKIP_4) | instid1(SALU_CYCLE_1)
	v_sub_nc_u16 v8, v0, v1
	s_cselect_b32 vcc_lo, -1, 0
	s_cmp_lg_u32 s6, 1
	s_cselect_b32 s11, -1, 0
	s_ashr_i32 s9, s8, 31
	s_lshl_b64 s[6:7], s[8:9], 2
	s_delay_alu instid0(SALU_CYCLE_1)
	s_add_nc_u64 s[4:5], s[4:5], s[6:7]
	s_load_b64 s[14:15], s[4:5], 0x0
	s_wait_kmcnt 0x0
	s_cmp_ge_i32 s14, s15
	s_cbranch_scc1 .LBB100_6
; %bb.2:
	v_lshrrev_b32_e32 v1, 4, v0
	s_clause 0x1
	s_load_b128 s[4:7], s[0:1], 0x18
	s_load_b64 s[12:13], s[0:1], 0x30
	v_mad_u32 v10, 0x70, s14, v0
	v_and_b32_e32 v7, 0xffff, v0
	v_and_b32_e32 v9, 0xffff, v8
	v_mul_lo_u16 v6, v1, 37
	s_wait_xcnt 0x0
	s_mul_i32 s0, s10, 0x70
	s_sub_co_i32 s1, s14, s10
	v_mul_u32_u24_e32 v11, 0x24a, v7
	v_lshrrev_b16 v6, 8, v6
	v_subrev_nc_u32_e32 v10, s0, v10
	s_sub_co_i32 s0, s15, s10
	s_delay_alu instid0(VALU_DEP_2) | instskip(NEXT) | instid1(VALU_DEP_1)
	v_mul_lo_u16 v6, v6, 7
	v_sub_nc_u16 v1, v1, v6
	v_mov_b64_e32 v[6:7], 0
	s_delay_alu instid0(VALU_DEP_2) | instskip(NEXT) | instid1(VALU_DEP_1)
	v_and_b32_e32 v12, 0xff, v1
	v_dual_lshrrev_b32 v1, 16, v11 :: v_dual_cndmask_b32 v9, v9, v12, vcc_lo
	s_branch .LBB100_4
.LBB100_3:                              ;   in Loop: Header=BB100_4 Depth=1
	s_or_b32 exec_lo, exec_lo, s9
	v_add_nc_u32_e32 v10, 0x70, v10
	s_add_co_i32 s1, s1, 1
	s_delay_alu instid0(SALU_CYCLE_1)
	s_cmp_ge_i32 s1, s0
	s_cbranch_scc1 .LBB100_7
.LBB100_4:                              ; =>This Inner Loop Header: Depth=1
	s_delay_alu instid0(VALU_DEP_1) | instskip(SKIP_1) | instid1(VALU_DEP_1)
	v_add_nc_u32_e32 v11, s1, v1
	s_mov_b32 s9, exec_lo
	v_cmpx_gt_i32_e64 s0, v11
	s_cbranch_execz .LBB100_3
; %bb.5:                                ;   in Loop: Header=BB100_4 Depth=1
	s_wait_kmcnt 0x0
	global_load_b32 v11, v11, s[4:5] scale_offset
	s_wait_loadcnt 0x0
	v_subrev_nc_u32_e32 v11, s10, v11
	s_delay_alu instid0(VALU_DEP_1) | instskip(SKIP_4) | instid1(VALU_DEP_1)
	v_mad_u32 v11, v11, 7, v9
	global_load_b64 v[12:13], v11, s[12:13] scale_offset
	global_load_b64 v[14:15], v10, s[6:7] scale_offset
	s_wait_loadcnt 0x0
	v_pk_fma_f32 v[6:7], v[14:15], v[12:13], v[6:7] op_sel_hi:[1,0,1]
	v_pk_fma_f32 v[6:7], v[14:15], v[12:13], v[6:7] op_sel:[1,1,0] op_sel_hi:[0,1,1] neg_lo:[1,0,0]
	s_branch .LBB100_3
.LBB100_6:
	v_mov_b64_e32 v[6:7], 0
.LBB100_7:
	v_lshlrev_b32_e32 v1, 3, v0
	s_and_b32 vcc_lo, exec_lo, s11
	ds_store_b64 v1, v[6:7]
	s_wait_dscnt 0x0
	s_barrier_signal -1
	s_barrier_wait -1
	s_cbranch_vccz .LBB100_17
; %bb.8:
	s_mov_b32 s0, exec_lo
	v_cmpx_gt_u16_e32 3, v8
	s_cbranch_execz .LBB100_10
; %bb.9:
	ds_load_2addr_b64 v[10:13], v1 offset1:4
	s_wait_dscnt 0x0
	v_pk_add_f32 v[10:11], v[12:13], v[10:11]
	ds_store_b64 v1, v[10:11]
.LBB100_10:
	s_or_b32 exec_lo, exec_lo, s0
	s_delay_alu instid0(SALU_CYCLE_1)
	s_mov_b32 s0, exec_lo
	s_wait_dscnt 0x0
	s_barrier_signal -1
	s_barrier_wait -1
	v_cmpx_gt_u16_e32 2, v8
	s_cbranch_execz .LBB100_12
; %bb.11:
	ds_load_2addr_b64 v[10:13], v1 offset1:2
	s_wait_dscnt 0x0
	v_pk_add_f32 v[10:11], v[12:13], v[10:11]
	ds_store_b64 v1, v[10:11]
.LBB100_12:
	s_or_b32 exec_lo, exec_lo, s0
	s_delay_alu instid0(SALU_CYCLE_1)
	s_mov_b32 s0, exec_lo
	s_wait_dscnt 0x0
	s_barrier_signal -1
	s_barrier_wait -1
	v_cmpx_eq_u16_e32 0, v8
	s_cbranch_execz .LBB100_14
; %bb.13:
	ds_load_2addr_b64 v[8:11], v1 offset1:1
	s_wait_dscnt 0x0
	v_pk_add_f32 v[8:9], v[10:11], v[8:9]
	ds_store_b64 v1, v[8:9]
.LBB100_14:
	s_or_b32 exec_lo, exec_lo, s0
	v_mov_b64_e32 v[8:9], v[6:7]
	s_mov_b32 s0, exec_lo
	s_wait_dscnt 0x0
	s_barrier_signal -1
	s_barrier_wait -1
	v_cmpx_gt_u32_e32 16, v0
; %bb.15:
	v_mad_u32_u24 v8, v0, 48, v1
	ds_load_b64 v[8:9], v8
; %bb.16:
	s_or_b32 exec_lo, exec_lo, s0
	s_branch .LBB100_27
.LBB100_17:
                                        ; implicit-def: $vgpr8_vgpr9
	s_cbranch_execz .LBB100_27
; %bb.18:
	s_mov_b32 s0, exec_lo
	v_cmpx_gt_u32_e32 48, v0
	s_cbranch_execz .LBB100_20
; %bb.19:
	s_wait_dscnt 0x0
	ds_load_2addr_stride64_b64 v[8:11], v1 offset1:1
	s_wait_dscnt 0x0
	v_pk_add_f32 v[8:9], v[10:11], v[8:9]
	ds_store_b64 v1, v[8:9]
.LBB100_20:
	s_or_b32 exec_lo, exec_lo, s0
	s_delay_alu instid0(SALU_CYCLE_1)
	s_mov_b32 s0, exec_lo
	s_wait_dscnt 0x0
	s_barrier_signal -1
	s_barrier_wait -1
	v_cmpx_gt_u32_e32 32, v0
	s_cbranch_execz .LBB100_22
; %bb.21:
	ds_load_2addr_b64 v[8:11], v1 offset1:32
	s_wait_dscnt 0x0
	v_pk_add_f32 v[8:9], v[10:11], v[8:9]
	ds_store_b64 v1, v[8:9]
.LBB100_22:
	s_or_b32 exec_lo, exec_lo, s0
	s_delay_alu instid0(SALU_CYCLE_1)
	s_mov_b32 s0, exec_lo
	s_wait_dscnt 0x0
	v_cmpx_lt_u32_e32 15, v0
	s_xor_b32 s0, exec_lo, s0
; %bb.23:
                                        ; implicit-def: $vgpr1
; %bb.24:
	s_delay_alu instid0(SALU_CYCLE_1)
	s_and_not1_saveexec_b32 s0, s0
	s_cbranch_execz .LBB100_26
; %bb.25:
	ds_load_2addr_b64 v[6:9], v1 offset1:16
	s_wait_dscnt 0x0
	v_pk_add_f32 v[6:7], v[8:9], v[6:7]
	ds_store_b64 v1, v[6:7]
	s_wait_dscnt 0x0
	ds_load_b64 v[6:7], v1
.LBB100_26:
	s_or_b32 exec_lo, exec_lo, s0
	s_wait_dscnt 0x0
	v_mov_b64_e32 v[8:9], v[6:7]
.LBB100_27:
	v_cmp_gt_u32_e32 vcc_lo, 16, v0
	s_and_b32 exec_lo, exec_lo, vcc_lo
	s_cbranch_execz .LBB100_32
; %bb.28:
	v_cmp_eq_f32_e32 vcc_lo, 0, v4
	v_cmp_eq_f32_e64 s0, 0, v5
	v_xor_b32_e32 v6, 0x80000000, v3
	v_lshl_or_b32 v0, s8, 4, v0
	s_and_b32 s0, vcc_lo, s0
	s_delay_alu instid0(SALU_CYCLE_1) | instskip(NEXT) | instid1(SALU_CYCLE_1)
	s_and_saveexec_b32 s1, s0
	s_xor_b32 s0, exec_lo, s1
	s_cbranch_execz .LBB100_30
; %bb.29:
	v_mov_b32_e32 v7, v2
	s_wait_dscnt 0x0
	s_delay_alu instid0(VALU_DEP_1) | instskip(NEXT) | instid1(VALU_DEP_1)
	v_pk_mul_f32 v[4:5], v[8:9], v[6:7] op_sel:[1,0]
                                        ; implicit-def: $vgpr6
	v_pk_fma_f32 v[2:3], v[2:3], v[8:9], v[4:5] op_sel_hi:[1,0,1]
                                        ; implicit-def: $vgpr4_vgpr5
                                        ; implicit-def: $vgpr8_vgpr9
	global_store_b64 v0, v[2:3], s[2:3] scale_offset
                                        ; implicit-def: $vgpr0
                                        ; implicit-def: $vgpr2_vgpr3
.LBB100_30:
	s_wait_xcnt 0x0
	s_and_not1_saveexec_b32 s0, s0
	s_cbranch_execz .LBB100_32
; %bb.31:
	global_load_b64 v[10:11], v0, s[2:3] scale_offset
	v_mov_b32_e32 v7, v2
	s_wait_dscnt 0x0
	s_delay_alu instid0(VALU_DEP_1) | instskip(NEXT) | instid1(VALU_DEP_1)
	v_pk_mul_f32 v[6:7], v[8:9], v[6:7] op_sel:[1,0]
	v_pk_fma_f32 v[2:3], v[2:3], v[8:9], v[6:7] op_sel_hi:[1,0,1]
	v_xor_b32_e32 v6, 0x80000000, v5
	v_mov_b32_e32 v7, v4
	s_wait_loadcnt 0x0
	s_delay_alu instid0(VALU_DEP_3) | instskip(NEXT) | instid1(VALU_DEP_1)
	v_pk_fma_f32 v[2:3], v[4:5], v[10:11], v[2:3] op_sel_hi:[1,0,1]
	v_pk_fma_f32 v[2:3], v[6:7], v[10:11], v[2:3] op_sel:[0,1,0]
	global_store_b64 v0, v[2:3], s[2:3] scale_offset
.LBB100_32:
	s_endpgm
	.section	.rodata,"a",@progbits
	.p2align	6, 0x0
	.amdhsa_kernel _ZN9rocsparseL22gebsrmvn_mxn_16_kernelILj112ELj16ELj7E21rocsparse_complex_numIfEEEvi20rocsparse_direction_NS_24const_host_device_scalarIT2_EEPKiS8_PKS5_iiSA_S6_PS5_21rocsparse_index_base_b
		.amdhsa_group_segment_fixed_size 896
		.amdhsa_private_segment_fixed_size 0
		.amdhsa_kernarg_size 80
		.amdhsa_user_sgpr_count 2
		.amdhsa_user_sgpr_dispatch_ptr 0
		.amdhsa_user_sgpr_queue_ptr 0
		.amdhsa_user_sgpr_kernarg_segment_ptr 1
		.amdhsa_user_sgpr_dispatch_id 0
		.amdhsa_user_sgpr_kernarg_preload_length 0
		.amdhsa_user_sgpr_kernarg_preload_offset 0
		.amdhsa_user_sgpr_private_segment_size 0
		.amdhsa_wavefront_size32 1
		.amdhsa_uses_dynamic_stack 0
		.amdhsa_enable_private_segment 0
		.amdhsa_system_sgpr_workgroup_id_x 1
		.amdhsa_system_sgpr_workgroup_id_y 0
		.amdhsa_system_sgpr_workgroup_id_z 0
		.amdhsa_system_sgpr_workgroup_info 0
		.amdhsa_system_vgpr_workitem_id 0
		.amdhsa_next_free_vgpr 16
		.amdhsa_next_free_sgpr 16
		.amdhsa_named_barrier_count 0
		.amdhsa_reserve_vcc 1
		.amdhsa_float_round_mode_32 0
		.amdhsa_float_round_mode_16_64 0
		.amdhsa_float_denorm_mode_32 3
		.amdhsa_float_denorm_mode_16_64 3
		.amdhsa_fp16_overflow 0
		.amdhsa_memory_ordered 1
		.amdhsa_forward_progress 1
		.amdhsa_inst_pref_size 10
		.amdhsa_round_robin_scheduling 0
		.amdhsa_exception_fp_ieee_invalid_op 0
		.amdhsa_exception_fp_denorm_src 0
		.amdhsa_exception_fp_ieee_div_zero 0
		.amdhsa_exception_fp_ieee_overflow 0
		.amdhsa_exception_fp_ieee_underflow 0
		.amdhsa_exception_fp_ieee_inexact 0
		.amdhsa_exception_int_div_zero 0
	.end_amdhsa_kernel
	.section	.text._ZN9rocsparseL22gebsrmvn_mxn_16_kernelILj112ELj16ELj7E21rocsparse_complex_numIfEEEvi20rocsparse_direction_NS_24const_host_device_scalarIT2_EEPKiS8_PKS5_iiSA_S6_PS5_21rocsparse_index_base_b,"axG",@progbits,_ZN9rocsparseL22gebsrmvn_mxn_16_kernelILj112ELj16ELj7E21rocsparse_complex_numIfEEEvi20rocsparse_direction_NS_24const_host_device_scalarIT2_EEPKiS8_PKS5_iiSA_S6_PS5_21rocsparse_index_base_b,comdat
.Lfunc_end100:
	.size	_ZN9rocsparseL22gebsrmvn_mxn_16_kernelILj112ELj16ELj7E21rocsparse_complex_numIfEEEvi20rocsparse_direction_NS_24const_host_device_scalarIT2_EEPKiS8_PKS5_iiSA_S6_PS5_21rocsparse_index_base_b, .Lfunc_end100-_ZN9rocsparseL22gebsrmvn_mxn_16_kernelILj112ELj16ELj7E21rocsparse_complex_numIfEEEvi20rocsparse_direction_NS_24const_host_device_scalarIT2_EEPKiS8_PKS5_iiSA_S6_PS5_21rocsparse_index_base_b
                                        ; -- End function
	.set _ZN9rocsparseL22gebsrmvn_mxn_16_kernelILj112ELj16ELj7E21rocsparse_complex_numIfEEEvi20rocsparse_direction_NS_24const_host_device_scalarIT2_EEPKiS8_PKS5_iiSA_S6_PS5_21rocsparse_index_base_b.num_vgpr, 16
	.set _ZN9rocsparseL22gebsrmvn_mxn_16_kernelILj112ELj16ELj7E21rocsparse_complex_numIfEEEvi20rocsparse_direction_NS_24const_host_device_scalarIT2_EEPKiS8_PKS5_iiSA_S6_PS5_21rocsparse_index_base_b.num_agpr, 0
	.set _ZN9rocsparseL22gebsrmvn_mxn_16_kernelILj112ELj16ELj7E21rocsparse_complex_numIfEEEvi20rocsparse_direction_NS_24const_host_device_scalarIT2_EEPKiS8_PKS5_iiSA_S6_PS5_21rocsparse_index_base_b.numbered_sgpr, 16
	.set _ZN9rocsparseL22gebsrmvn_mxn_16_kernelILj112ELj16ELj7E21rocsparse_complex_numIfEEEvi20rocsparse_direction_NS_24const_host_device_scalarIT2_EEPKiS8_PKS5_iiSA_S6_PS5_21rocsparse_index_base_b.num_named_barrier, 0
	.set _ZN9rocsparseL22gebsrmvn_mxn_16_kernelILj112ELj16ELj7E21rocsparse_complex_numIfEEEvi20rocsparse_direction_NS_24const_host_device_scalarIT2_EEPKiS8_PKS5_iiSA_S6_PS5_21rocsparse_index_base_b.private_seg_size, 0
	.set _ZN9rocsparseL22gebsrmvn_mxn_16_kernelILj112ELj16ELj7E21rocsparse_complex_numIfEEEvi20rocsparse_direction_NS_24const_host_device_scalarIT2_EEPKiS8_PKS5_iiSA_S6_PS5_21rocsparse_index_base_b.uses_vcc, 1
	.set _ZN9rocsparseL22gebsrmvn_mxn_16_kernelILj112ELj16ELj7E21rocsparse_complex_numIfEEEvi20rocsparse_direction_NS_24const_host_device_scalarIT2_EEPKiS8_PKS5_iiSA_S6_PS5_21rocsparse_index_base_b.uses_flat_scratch, 1
	.set _ZN9rocsparseL22gebsrmvn_mxn_16_kernelILj112ELj16ELj7E21rocsparse_complex_numIfEEEvi20rocsparse_direction_NS_24const_host_device_scalarIT2_EEPKiS8_PKS5_iiSA_S6_PS5_21rocsparse_index_base_b.has_dyn_sized_stack, 0
	.set _ZN9rocsparseL22gebsrmvn_mxn_16_kernelILj112ELj16ELj7E21rocsparse_complex_numIfEEEvi20rocsparse_direction_NS_24const_host_device_scalarIT2_EEPKiS8_PKS5_iiSA_S6_PS5_21rocsparse_index_base_b.has_recursion, 0
	.set _ZN9rocsparseL22gebsrmvn_mxn_16_kernelILj112ELj16ELj7E21rocsparse_complex_numIfEEEvi20rocsparse_direction_NS_24const_host_device_scalarIT2_EEPKiS8_PKS5_iiSA_S6_PS5_21rocsparse_index_base_b.has_indirect_call, 0
	.section	.AMDGPU.csdata,"",@progbits
; Kernel info:
; codeLenInByte = 1252
; TotalNumSgprs: 18
; NumVgprs: 16
; ScratchSize: 0
; MemoryBound: 0
; FloatMode: 240
; IeeeMode: 1
; LDSByteSize: 896 bytes/workgroup (compile time only)
; SGPRBlocks: 0
; VGPRBlocks: 0
; NumSGPRsForWavesPerEU: 18
; NumVGPRsForWavesPerEU: 16
; NamedBarCnt: 0
; Occupancy: 16
; WaveLimiterHint : 1
; COMPUTE_PGM_RSRC2:SCRATCH_EN: 0
; COMPUTE_PGM_RSRC2:USER_SGPR: 2
; COMPUTE_PGM_RSRC2:TRAP_HANDLER: 0
; COMPUTE_PGM_RSRC2:TGID_X_EN: 1
; COMPUTE_PGM_RSRC2:TGID_Y_EN: 0
; COMPUTE_PGM_RSRC2:TGID_Z_EN: 0
; COMPUTE_PGM_RSRC2:TIDIG_COMP_CNT: 0
	.section	.text._ZN9rocsparseL22gebsrmvn_mxn_16_kernelILj128ELj16ELj8E21rocsparse_complex_numIfEEEvi20rocsparse_direction_NS_24const_host_device_scalarIT2_EEPKiS8_PKS5_iiSA_S6_PS5_21rocsparse_index_base_b,"axG",@progbits,_ZN9rocsparseL22gebsrmvn_mxn_16_kernelILj128ELj16ELj8E21rocsparse_complex_numIfEEEvi20rocsparse_direction_NS_24const_host_device_scalarIT2_EEPKiS8_PKS5_iiSA_S6_PS5_21rocsparse_index_base_b,comdat
	.globl	_ZN9rocsparseL22gebsrmvn_mxn_16_kernelILj128ELj16ELj8E21rocsparse_complex_numIfEEEvi20rocsparse_direction_NS_24const_host_device_scalarIT2_EEPKiS8_PKS5_iiSA_S6_PS5_21rocsparse_index_base_b ; -- Begin function _ZN9rocsparseL22gebsrmvn_mxn_16_kernelILj128ELj16ELj8E21rocsparse_complex_numIfEEEvi20rocsparse_direction_NS_24const_host_device_scalarIT2_EEPKiS8_PKS5_iiSA_S6_PS5_21rocsparse_index_base_b
	.p2align	8
	.type	_ZN9rocsparseL22gebsrmvn_mxn_16_kernelILj128ELj16ELj8E21rocsparse_complex_numIfEEEvi20rocsparse_direction_NS_24const_host_device_scalarIT2_EEPKiS8_PKS5_iiSA_S6_PS5_21rocsparse_index_base_b,@function
_ZN9rocsparseL22gebsrmvn_mxn_16_kernelILj128ELj16ELj8E21rocsparse_complex_numIfEEEvi20rocsparse_direction_NS_24const_host_device_scalarIT2_EEPKiS8_PKS5_iiSA_S6_PS5_21rocsparse_index_base_b: ; @_ZN9rocsparseL22gebsrmvn_mxn_16_kernelILj128ELj16ELj8E21rocsparse_complex_numIfEEEvi20rocsparse_direction_NS_24const_host_device_scalarIT2_EEPKiS8_PKS5_iiSA_S6_PS5_21rocsparse_index_base_b
; %bb.0:
	s_clause 0x2
	s_load_b64 s[10:11], s[0:1], 0x48
	s_load_b64 s[2:3], s[0:1], 0x8
	;; [unrolled: 1-line block ×3, first 2 shown]
	v_mov_b32_e32 v1, 0
	s_add_nc_u64 s[6:7], s[0:1], 8
	s_add_nc_u64 s[8:9], s[0:1], 56
	s_wait_kmcnt 0x0
	s_bitcmp1_b32 s11, 0
	s_cselect_b32 s3, s7, s3
	s_cselect_b32 s2, s6, s2
	;; [unrolled: 1-line block ×4, first 2 shown]
	s_clause 0x1
	flat_load_b64 v[2:3], v1, s[2:3]
	flat_load_b64 v[4:5], v1, s[4:5]
	s_wait_loadcnt_dscnt 0x101
	v_cmp_eq_f32_e32 vcc_lo, 0, v2
	v_cmp_eq_f32_e64 s2, 0, v3
	s_wait_loadcnt_dscnt 0x0
	v_cmp_eq_f32_e64 s3, 1.0, v4
	v_cmp_eq_f32_e64 s4, 0, v5
	s_and_b32 s2, vcc_lo, s2
	s_and_b32 s3, s3, s4
	s_delay_alu instid0(SALU_CYCLE_1) | instskip(NEXT) | instid1(SALU_CYCLE_1)
	s_and_b32 s2, s2, s3
	s_xor_b32 s2, s2, -1
	s_delay_alu instid0(SALU_CYCLE_1)
	s_and_saveexec_b32 s3, s2
	s_cbranch_execz .LBB101_32
; %bb.1:
	s_clause 0x2
	s_load_b64 s[2:3], s[0:1], 0x40
	s_load_b32 s6, s[0:1], 0x4
	s_load_b64 s[4:5], s[0:1], 0x10
	s_bfe_u32 s7, ttmp6, 0x4000c
	s_and_b32 s8, ttmp6, 15
	s_add_co_i32 s7, s7, 1
	s_getreg_b32 s9, hwreg(HW_REG_IB_STS2, 6, 4)
	s_mul_i32 s7, ttmp9, s7
	v_and_b32_e32 v8, 7, v0
	s_add_co_i32 s8, s8, s7
	s_cmp_eq_u32 s9, 0
	s_cselect_b32 s8, ttmp9, s8
	s_wait_kmcnt 0x0
	s_cmp_eq_u32 s6, 1
	s_cselect_b32 vcc_lo, -1, 0
	s_cmp_lg_u32 s6, 1
	s_cselect_b32 s11, -1, 0
	s_ashr_i32 s9, s8, 31
	s_delay_alu instid0(SALU_CYCLE_1) | instskip(NEXT) | instid1(SALU_CYCLE_1)
	s_lshl_b64 s[6:7], s[8:9], 2
	s_add_nc_u64 s[4:5], s[4:5], s[6:7]
	s_load_b64 s[14:15], s[4:5], 0x0
	s_wait_kmcnt 0x0
	s_cmp_ge_i32 s14, s15
	s_cbranch_scc1 .LBB101_6
; %bb.2:
	s_clause 0x1
	s_load_b128 s[4:7], s[0:1], 0x18
	s_load_b64 s[12:13], s[0:1], 0x30
	v_lshrrev_b32_e32 v1, 4, v0
	v_lshl_or_b32 v9, s14, 7, v0
	s_wait_xcnt 0x0
	s_lshl_b32 s0, s10, 7
	v_mov_b64_e32 v[6:7], 0
	s_sub_co_i32 s1, s14, s10
	v_cndmask_b32_e32 v1, v8, v1, vcc_lo
	v_subrev_nc_u32_e32 v9, s0, v9
	s_sub_co_i32 s0, s15, s10
	s_branch .LBB101_4
.LBB101_3:                              ;   in Loop: Header=BB101_4 Depth=1
	s_or_b32 exec_lo, exec_lo, s9
	v_add_nc_u32_e32 v9, 0x80, v9
	s_add_co_i32 s1, s1, 1
	s_delay_alu instid0(SALU_CYCLE_1)
	s_cmp_ge_i32 s1, s0
	s_cbranch_scc1 .LBB101_7
.LBB101_4:                              ; =>This Inner Loop Header: Depth=1
	s_cmp_lt_i32 s1, s0
	s_cselect_b32 s14, -1, 0
	s_delay_alu instid0(SALU_CYCLE_1)
	s_and_saveexec_b32 s9, s14
	s_cbranch_execz .LBB101_3
; %bb.5:                                ;   in Loop: Header=BB101_4 Depth=1
	v_mov_b32_e32 v10, s1
	s_wait_kmcnt 0x0
	global_load_b32 v10, v10, s[4:5] scale_offset
	s_wait_loadcnt 0x0
	v_subrev_nc_u32_e32 v10, s10, v10
	s_delay_alu instid0(VALU_DEP_1) | instskip(SKIP_4) | instid1(VALU_DEP_1)
	v_lshl_or_b32 v14, v10, 3, v1
	global_load_b64 v[10:11], v14, s[12:13] scale_offset
	global_load_b64 v[12:13], v9, s[6:7] scale_offset
	s_wait_loadcnt 0x0
	v_pk_fma_f32 v[6:7], v[12:13], v[10:11], v[6:7] op_sel_hi:[1,0,1]
	v_pk_fma_f32 v[6:7], v[12:13], v[10:11], v[6:7] op_sel:[1,1,0] op_sel_hi:[0,1,1] neg_lo:[1,0,0]
	s_branch .LBB101_3
.LBB101_6:
	v_mov_b64_e32 v[6:7], 0
.LBB101_7:
	v_lshlrev_b32_e32 v1, 3, v0
	s_and_b32 vcc_lo, exec_lo, s11
	ds_store_b64 v1, v[6:7]
	s_wait_dscnt 0x0
	s_barrier_signal -1
	s_barrier_wait -1
	s_cbranch_vccz .LBB101_17
; %bb.8:
	s_mov_b32 s0, exec_lo
	v_cmpx_gt_u32_e32 4, v8
	s_cbranch_execz .LBB101_10
; %bb.9:
	ds_load_2addr_b64 v[10:13], v1 offset1:4
	s_wait_dscnt 0x0
	v_pk_add_f32 v[10:11], v[12:13], v[10:11]
	ds_store_b64 v1, v[10:11]
.LBB101_10:
	s_or_b32 exec_lo, exec_lo, s0
	s_delay_alu instid0(SALU_CYCLE_1)
	s_mov_b32 s0, exec_lo
	s_wait_dscnt 0x0
	s_barrier_signal -1
	s_barrier_wait -1
	v_cmpx_gt_u32_e32 2, v8
	s_cbranch_execz .LBB101_12
; %bb.11:
	ds_load_2addr_b64 v[10:13], v1 offset1:2
	s_wait_dscnt 0x0
	v_pk_add_f32 v[10:11], v[12:13], v[10:11]
	ds_store_b64 v1, v[10:11]
.LBB101_12:
	s_or_b32 exec_lo, exec_lo, s0
	s_delay_alu instid0(SALU_CYCLE_1)
	s_mov_b32 s0, exec_lo
	s_wait_dscnt 0x0
	s_barrier_signal -1
	s_barrier_wait -1
	v_cmpx_eq_u32_e32 0, v8
	s_cbranch_execz .LBB101_14
; %bb.13:
	ds_load_2addr_b64 v[8:11], v1 offset1:1
	s_wait_dscnt 0x0
	v_pk_add_f32 v[8:9], v[10:11], v[8:9]
	ds_store_b64 v1, v[8:9]
.LBB101_14:
	s_or_b32 exec_lo, exec_lo, s0
	v_mov_b64_e32 v[8:9], v[6:7]
	s_mov_b32 s0, exec_lo
	s_wait_dscnt 0x0
	s_barrier_signal -1
	s_barrier_wait -1
	v_cmpx_gt_u32_e32 16, v0
; %bb.15:
	v_mad_u32_u24 v8, v0, 56, v1
	ds_load_b64 v[8:9], v8
; %bb.16:
	s_or_b32 exec_lo, exec_lo, s0
	s_branch .LBB101_27
.LBB101_17:
                                        ; implicit-def: $vgpr8_vgpr9
	s_cbranch_execz .LBB101_27
; %bb.18:
	s_mov_b32 s0, exec_lo
	v_cmpx_gt_u32_e32 64, v0
	s_cbranch_execz .LBB101_20
; %bb.19:
	s_wait_dscnt 0x0
	ds_load_2addr_stride64_b64 v[8:11], v1 offset1:1
	s_wait_dscnt 0x0
	v_pk_add_f32 v[8:9], v[10:11], v[8:9]
	ds_store_b64 v1, v[8:9]
.LBB101_20:
	s_or_b32 exec_lo, exec_lo, s0
	s_delay_alu instid0(SALU_CYCLE_1)
	s_mov_b32 s0, exec_lo
	s_wait_dscnt 0x0
	s_barrier_signal -1
	s_barrier_wait -1
	v_cmpx_gt_u32_e32 32, v0
	s_cbranch_execz .LBB101_22
; %bb.21:
	ds_load_2addr_b64 v[8:11], v1 offset1:32
	s_wait_dscnt 0x0
	v_pk_add_f32 v[8:9], v[10:11], v[8:9]
	ds_store_b64 v1, v[8:9]
.LBB101_22:
	s_or_b32 exec_lo, exec_lo, s0
	s_delay_alu instid0(SALU_CYCLE_1)
	s_mov_b32 s0, exec_lo
	s_wait_dscnt 0x0
	v_cmpx_lt_u32_e32 15, v0
	s_xor_b32 s0, exec_lo, s0
; %bb.23:
                                        ; implicit-def: $vgpr1
; %bb.24:
	s_delay_alu instid0(SALU_CYCLE_1)
	s_and_not1_saveexec_b32 s0, s0
	s_cbranch_execz .LBB101_26
; %bb.25:
	ds_load_2addr_b64 v[6:9], v1 offset1:16
	s_wait_dscnt 0x0
	v_pk_add_f32 v[6:7], v[8:9], v[6:7]
	ds_store_b64 v1, v[6:7]
	s_wait_dscnt 0x0
	ds_load_b64 v[6:7], v1
.LBB101_26:
	s_or_b32 exec_lo, exec_lo, s0
	s_wait_dscnt 0x0
	v_mov_b64_e32 v[8:9], v[6:7]
.LBB101_27:
	v_cmp_gt_u32_e32 vcc_lo, 16, v0
	s_and_b32 exec_lo, exec_lo, vcc_lo
	s_cbranch_execz .LBB101_32
; %bb.28:
	v_cmp_eq_f32_e32 vcc_lo, 0, v4
	v_cmp_eq_f32_e64 s0, 0, v5
	v_xor_b32_e32 v6, 0x80000000, v3
	v_lshl_or_b32 v0, s8, 4, v0
	s_and_b32 s0, vcc_lo, s0
	s_delay_alu instid0(SALU_CYCLE_1) | instskip(NEXT) | instid1(SALU_CYCLE_1)
	s_and_saveexec_b32 s1, s0
	s_xor_b32 s0, exec_lo, s1
	s_cbranch_execz .LBB101_30
; %bb.29:
	v_mov_b32_e32 v7, v2
	s_wait_dscnt 0x0
	s_delay_alu instid0(VALU_DEP_1) | instskip(NEXT) | instid1(VALU_DEP_1)
	v_pk_mul_f32 v[4:5], v[8:9], v[6:7] op_sel:[1,0]
                                        ; implicit-def: $vgpr6
	v_pk_fma_f32 v[2:3], v[2:3], v[8:9], v[4:5] op_sel_hi:[1,0,1]
                                        ; implicit-def: $vgpr4_vgpr5
                                        ; implicit-def: $vgpr8_vgpr9
	global_store_b64 v0, v[2:3], s[2:3] scale_offset
                                        ; implicit-def: $vgpr0
                                        ; implicit-def: $vgpr2_vgpr3
.LBB101_30:
	s_wait_xcnt 0x0
	s_and_not1_saveexec_b32 s0, s0
	s_cbranch_execz .LBB101_32
; %bb.31:
	global_load_b64 v[10:11], v0, s[2:3] scale_offset
	v_mov_b32_e32 v7, v2
	s_wait_dscnt 0x0
	s_delay_alu instid0(VALU_DEP_1) | instskip(NEXT) | instid1(VALU_DEP_1)
	v_pk_mul_f32 v[6:7], v[8:9], v[6:7] op_sel:[1,0]
	v_pk_fma_f32 v[2:3], v[2:3], v[8:9], v[6:7] op_sel_hi:[1,0,1]
	v_xor_b32_e32 v6, 0x80000000, v5
	v_mov_b32_e32 v7, v4
	s_wait_loadcnt 0x0
	s_delay_alu instid0(VALU_DEP_3) | instskip(NEXT) | instid1(VALU_DEP_1)
	v_pk_fma_f32 v[2:3], v[4:5], v[10:11], v[2:3] op_sel_hi:[1,0,1]
	v_pk_fma_f32 v[2:3], v[6:7], v[10:11], v[2:3] op_sel:[0,1,0]
	global_store_b64 v0, v[2:3], s[2:3] scale_offset
.LBB101_32:
	s_endpgm
	.section	.rodata,"a",@progbits
	.p2align	6, 0x0
	.amdhsa_kernel _ZN9rocsparseL22gebsrmvn_mxn_16_kernelILj128ELj16ELj8E21rocsparse_complex_numIfEEEvi20rocsparse_direction_NS_24const_host_device_scalarIT2_EEPKiS8_PKS5_iiSA_S6_PS5_21rocsparse_index_base_b
		.amdhsa_group_segment_fixed_size 1024
		.amdhsa_private_segment_fixed_size 0
		.amdhsa_kernarg_size 80
		.amdhsa_user_sgpr_count 2
		.amdhsa_user_sgpr_dispatch_ptr 0
		.amdhsa_user_sgpr_queue_ptr 0
		.amdhsa_user_sgpr_kernarg_segment_ptr 1
		.amdhsa_user_sgpr_dispatch_id 0
		.amdhsa_user_sgpr_kernarg_preload_length 0
		.amdhsa_user_sgpr_kernarg_preload_offset 0
		.amdhsa_user_sgpr_private_segment_size 0
		.amdhsa_wavefront_size32 1
		.amdhsa_uses_dynamic_stack 0
		.amdhsa_enable_private_segment 0
		.amdhsa_system_sgpr_workgroup_id_x 1
		.amdhsa_system_sgpr_workgroup_id_y 0
		.amdhsa_system_sgpr_workgroup_id_z 0
		.amdhsa_system_sgpr_workgroup_info 0
		.amdhsa_system_vgpr_workitem_id 0
		.amdhsa_next_free_vgpr 15
		.amdhsa_next_free_sgpr 16
		.amdhsa_named_barrier_count 0
		.amdhsa_reserve_vcc 1
		.amdhsa_float_round_mode_32 0
		.amdhsa_float_round_mode_16_64 0
		.amdhsa_float_denorm_mode_32 3
		.amdhsa_float_denorm_mode_16_64 3
		.amdhsa_fp16_overflow 0
		.amdhsa_memory_ordered 1
		.amdhsa_forward_progress 1
		.amdhsa_inst_pref_size 9
		.amdhsa_round_robin_scheduling 0
		.amdhsa_exception_fp_ieee_invalid_op 0
		.amdhsa_exception_fp_denorm_src 0
		.amdhsa_exception_fp_ieee_div_zero 0
		.amdhsa_exception_fp_ieee_overflow 0
		.amdhsa_exception_fp_ieee_underflow 0
		.amdhsa_exception_fp_ieee_inexact 0
		.amdhsa_exception_int_div_zero 0
	.end_amdhsa_kernel
	.section	.text._ZN9rocsparseL22gebsrmvn_mxn_16_kernelILj128ELj16ELj8E21rocsparse_complex_numIfEEEvi20rocsparse_direction_NS_24const_host_device_scalarIT2_EEPKiS8_PKS5_iiSA_S6_PS5_21rocsparse_index_base_b,"axG",@progbits,_ZN9rocsparseL22gebsrmvn_mxn_16_kernelILj128ELj16ELj8E21rocsparse_complex_numIfEEEvi20rocsparse_direction_NS_24const_host_device_scalarIT2_EEPKiS8_PKS5_iiSA_S6_PS5_21rocsparse_index_base_b,comdat
.Lfunc_end101:
	.size	_ZN9rocsparseL22gebsrmvn_mxn_16_kernelILj128ELj16ELj8E21rocsparse_complex_numIfEEEvi20rocsparse_direction_NS_24const_host_device_scalarIT2_EEPKiS8_PKS5_iiSA_S6_PS5_21rocsparse_index_base_b, .Lfunc_end101-_ZN9rocsparseL22gebsrmvn_mxn_16_kernelILj128ELj16ELj8E21rocsparse_complex_numIfEEEvi20rocsparse_direction_NS_24const_host_device_scalarIT2_EEPKiS8_PKS5_iiSA_S6_PS5_21rocsparse_index_base_b
                                        ; -- End function
	.set _ZN9rocsparseL22gebsrmvn_mxn_16_kernelILj128ELj16ELj8E21rocsparse_complex_numIfEEEvi20rocsparse_direction_NS_24const_host_device_scalarIT2_EEPKiS8_PKS5_iiSA_S6_PS5_21rocsparse_index_base_b.num_vgpr, 15
	.set _ZN9rocsparseL22gebsrmvn_mxn_16_kernelILj128ELj16ELj8E21rocsparse_complex_numIfEEEvi20rocsparse_direction_NS_24const_host_device_scalarIT2_EEPKiS8_PKS5_iiSA_S6_PS5_21rocsparse_index_base_b.num_agpr, 0
	.set _ZN9rocsparseL22gebsrmvn_mxn_16_kernelILj128ELj16ELj8E21rocsparse_complex_numIfEEEvi20rocsparse_direction_NS_24const_host_device_scalarIT2_EEPKiS8_PKS5_iiSA_S6_PS5_21rocsparse_index_base_b.numbered_sgpr, 16
	.set _ZN9rocsparseL22gebsrmvn_mxn_16_kernelILj128ELj16ELj8E21rocsparse_complex_numIfEEEvi20rocsparse_direction_NS_24const_host_device_scalarIT2_EEPKiS8_PKS5_iiSA_S6_PS5_21rocsparse_index_base_b.num_named_barrier, 0
	.set _ZN9rocsparseL22gebsrmvn_mxn_16_kernelILj128ELj16ELj8E21rocsparse_complex_numIfEEEvi20rocsparse_direction_NS_24const_host_device_scalarIT2_EEPKiS8_PKS5_iiSA_S6_PS5_21rocsparse_index_base_b.private_seg_size, 0
	.set _ZN9rocsparseL22gebsrmvn_mxn_16_kernelILj128ELj16ELj8E21rocsparse_complex_numIfEEEvi20rocsparse_direction_NS_24const_host_device_scalarIT2_EEPKiS8_PKS5_iiSA_S6_PS5_21rocsparse_index_base_b.uses_vcc, 1
	.set _ZN9rocsparseL22gebsrmvn_mxn_16_kernelILj128ELj16ELj8E21rocsparse_complex_numIfEEEvi20rocsparse_direction_NS_24const_host_device_scalarIT2_EEPKiS8_PKS5_iiSA_S6_PS5_21rocsparse_index_base_b.uses_flat_scratch, 1
	.set _ZN9rocsparseL22gebsrmvn_mxn_16_kernelILj128ELj16ELj8E21rocsparse_complex_numIfEEEvi20rocsparse_direction_NS_24const_host_device_scalarIT2_EEPKiS8_PKS5_iiSA_S6_PS5_21rocsparse_index_base_b.has_dyn_sized_stack, 0
	.set _ZN9rocsparseL22gebsrmvn_mxn_16_kernelILj128ELj16ELj8E21rocsparse_complex_numIfEEEvi20rocsparse_direction_NS_24const_host_device_scalarIT2_EEPKiS8_PKS5_iiSA_S6_PS5_21rocsparse_index_base_b.has_recursion, 0
	.set _ZN9rocsparseL22gebsrmvn_mxn_16_kernelILj128ELj16ELj8E21rocsparse_complex_numIfEEEvi20rocsparse_direction_NS_24const_host_device_scalarIT2_EEPKiS8_PKS5_iiSA_S6_PS5_21rocsparse_index_base_b.has_indirect_call, 0
	.section	.AMDGPU.csdata,"",@progbits
; Kernel info:
; codeLenInByte = 1132
; TotalNumSgprs: 18
; NumVgprs: 15
; ScratchSize: 0
; MemoryBound: 0
; FloatMode: 240
; IeeeMode: 1
; LDSByteSize: 1024 bytes/workgroup (compile time only)
; SGPRBlocks: 0
; VGPRBlocks: 0
; NumSGPRsForWavesPerEU: 18
; NumVGPRsForWavesPerEU: 15
; NamedBarCnt: 0
; Occupancy: 16
; WaveLimiterHint : 1
; COMPUTE_PGM_RSRC2:SCRATCH_EN: 0
; COMPUTE_PGM_RSRC2:USER_SGPR: 2
; COMPUTE_PGM_RSRC2:TRAP_HANDLER: 0
; COMPUTE_PGM_RSRC2:TGID_X_EN: 1
; COMPUTE_PGM_RSRC2:TGID_Y_EN: 0
; COMPUTE_PGM_RSRC2:TGID_Z_EN: 0
; COMPUTE_PGM_RSRC2:TIDIG_COMP_CNT: 0
	.section	.text._ZN9rocsparseL22gebsrmvn_mxn_16_kernelILj52ELj13ELj1E21rocsparse_complex_numIdEEEvi20rocsparse_direction_NS_24const_host_device_scalarIT2_EEPKiS8_PKS5_iiSA_S6_PS5_21rocsparse_index_base_b,"axG",@progbits,_ZN9rocsparseL22gebsrmvn_mxn_16_kernelILj52ELj13ELj1E21rocsparse_complex_numIdEEEvi20rocsparse_direction_NS_24const_host_device_scalarIT2_EEPKiS8_PKS5_iiSA_S6_PS5_21rocsparse_index_base_b,comdat
	.globl	_ZN9rocsparseL22gebsrmvn_mxn_16_kernelILj52ELj13ELj1E21rocsparse_complex_numIdEEEvi20rocsparse_direction_NS_24const_host_device_scalarIT2_EEPKiS8_PKS5_iiSA_S6_PS5_21rocsparse_index_base_b ; -- Begin function _ZN9rocsparseL22gebsrmvn_mxn_16_kernelILj52ELj13ELj1E21rocsparse_complex_numIdEEEvi20rocsparse_direction_NS_24const_host_device_scalarIT2_EEPKiS8_PKS5_iiSA_S6_PS5_21rocsparse_index_base_b
	.p2align	8
	.type	_ZN9rocsparseL22gebsrmvn_mxn_16_kernelILj52ELj13ELj1E21rocsparse_complex_numIdEEEvi20rocsparse_direction_NS_24const_host_device_scalarIT2_EEPKiS8_PKS5_iiSA_S6_PS5_21rocsparse_index_base_b,@function
_ZN9rocsparseL22gebsrmvn_mxn_16_kernelILj52ELj13ELj1E21rocsparse_complex_numIdEEEvi20rocsparse_direction_NS_24const_host_device_scalarIT2_EEPKiS8_PKS5_iiSA_S6_PS5_21rocsparse_index_base_b: ; @_ZN9rocsparseL22gebsrmvn_mxn_16_kernelILj52ELj13ELj1E21rocsparse_complex_numIdEEEvi20rocsparse_direction_NS_24const_host_device_scalarIT2_EEPKiS8_PKS5_iiSA_S6_PS5_21rocsparse_index_base_b
; %bb.0:
	s_clause 0x1
	s_load_b64 s[10:11], s[0:1], 0x58
	s_load_b64 s[2:3], s[0:1], 0x8
	v_mov_b32_e32 v1, 0
	s_add_nc_u64 s[4:5], s[0:1], 8
	s_load_b64 s[6:7], s[0:1], 0x40
	s_wait_kmcnt 0x0
	s_bitcmp1_b32 s11, 0
	s_cselect_b32 s3, s5, s3
	s_cselect_b32 s2, s4, s2
	flat_load_b128 v[6:9], v1, s[2:3]
	s_wait_xcnt 0x0
	s_add_nc_u64 s[2:3], s[0:1], 64
	s_delay_alu instid0(SALU_CYCLE_1)
	s_cselect_b32 s3, s3, s7
	s_cselect_b32 s2, s2, s6
	flat_load_b128 v[2:5], v1, s[2:3]
	s_wait_loadcnt_dscnt 0x101
	v_cmp_eq_f64_e32 vcc_lo, 0, v[6:7]
	s_wait_xcnt 0x0
	v_cmp_eq_f64_e64 s2, 0, v[8:9]
	s_and_b32 s4, vcc_lo, s2
	s_mov_b32 s2, -1
	s_and_saveexec_b32 s3, s4
	s_cbranch_execz .LBB102_2
; %bb.1:
	s_wait_loadcnt_dscnt 0x0
	v_cmp_neq_f64_e32 vcc_lo, 1.0, v[2:3]
	v_cmp_neq_f64_e64 s2, 0, v[4:5]
	s_or_b32 s2, vcc_lo, s2
	s_delay_alu instid0(SALU_CYCLE_1)
	s_or_not1_b32 s2, s2, exec_lo
.LBB102_2:
	s_or_b32 exec_lo, exec_lo, s3
	s_and_saveexec_b32 s3, s2
	s_cbranch_execz .LBB102_19
; %bb.3:
	s_load_b64 s[2:3], s[0:1], 0x18
	s_bfe_u32 s4, ttmp6, 0x4000c
	s_and_b32 s5, ttmp6, 15
	s_add_co_i32 s4, s4, 1
	s_getreg_b32 s6, hwreg(HW_REG_IB_STS2, 6, 4)
	s_mul_i32 s4, ttmp9, s4
	s_delay_alu instid0(SALU_CYCLE_1) | instskip(SKIP_2) | instid1(SALU_CYCLE_1)
	s_add_co_i32 s5, s5, s4
	s_cmp_eq_u32 s6, 0
	s_cselect_b32 s8, ttmp9, s5
	s_ashr_i32 s9, s8, 31
	s_delay_alu instid0(SALU_CYCLE_1)
	s_lshl_b64 s[4:5], s[8:9], 2
	s_wait_kmcnt 0x0
	s_add_nc_u64 s[2:3], s[2:3], s[4:5]
	s_mov_b32 s4, 0
	s_load_b64 s[14:15], s[2:3], 0x0
	s_wait_kmcnt 0x0
	s_cmp_lt_i32 s14, s15
	s_cbranch_scc0 .LBB102_5
; %bb.4:
	s_mov_b32 s4, -1
.LBB102_5:
	s_load_b64 s[2:3], s[0:1], 0x50
	v_mov_b64_e32 v[12:13], 0
	v_mov_b64_e32 v[10:11], 0
	s_and_not1_b32 vcc_lo, exec_lo, s4
	s_cbranch_vccnz .LBB102_10
; %bb.6:
	s_clause 0x1
	s_load_b128 s[4:7], s[0:1], 0x20
	s_load_b64 s[12:13], s[0:1], 0x38
	v_mad_u32 v10, s14, 13, v0
	v_mov_b64_e32 v[12:13], 0
	v_mul_u32_u24_e32 v1, 0x13b2, v0
	s_wait_xcnt 0x0
	s_mul_i32 s0, s10, 13
	s_sub_co_i32 s1, s14, s10
	s_delay_alu instid0(VALU_DEP_1) | instskip(NEXT) | instid1(VALU_DEP_4)
	v_lshrrev_b32_e32 v1, 16, v1
	v_subrev_nc_u32_e32 v14, s0, v10
	v_mov_b64_e32 v[10:11], v[12:13]
	s_sub_co_i32 s0, s15, s10
	s_branch .LBB102_8
.LBB102_7:                              ;   in Loop: Header=BB102_8 Depth=1
	s_or_b32 exec_lo, exec_lo, s9
	v_add_nc_u32_e32 v14, 52, v14
	s_add_co_i32 s1, s1, 4
	s_delay_alu instid0(SALU_CYCLE_1)
	s_cmp_ge_i32 s1, s0
	s_cbranch_scc1 .LBB102_10
.LBB102_8:                              ; =>This Inner Loop Header: Depth=1
	v_add_nc_u32_e32 v15, s1, v1
	s_mov_b32 s9, exec_lo
	s_delay_alu instid0(VALU_DEP_1)
	v_cmpx_gt_i32_e64 s0, v15
	s_cbranch_execz .LBB102_7
; %bb.9:                                ;   in Loop: Header=BB102_8 Depth=1
	s_wait_kmcnt 0x0
	global_load_b32 v15, v15, s[4:5] scale_offset
	s_wait_loadcnt 0x0
	v_subrev_nc_u32_e32 v15, s10, v15
	global_load_b128 v[16:19], v14, s[6:7] scale_offset
	global_load_b128 v[20:23], v15, s[12:13] scale_offset
	s_wait_loadcnt 0x0
	v_fmac_f64_e32 v[10:11], v[16:17], v[20:21]
	v_fmac_f64_e32 v[12:13], v[18:19], v[20:21]
	s_delay_alu instid0(VALU_DEP_2) | instskip(NEXT) | instid1(VALU_DEP_2)
	v_fma_f64 v[10:11], -v[18:19], v[22:23], v[10:11]
	v_fmac_f64_e32 v[12:13], v[16:17], v[22:23]
	s_branch .LBB102_7
.LBB102_10:
	v_lshlrev_b32_e32 v1, 4, v0
	s_wait_xcnt 0x0
	s_mov_b32 s0, exec_lo
	ds_store_b128 v1, v[10:13]
	s_wait_loadcnt_dscnt 0x0
	s_barrier_signal -1
	s_barrier_wait -1
	v_cmpx_gt_u32_e32 26, v0
	s_cbranch_execz .LBB102_12
; %bb.11:
	ds_load_b128 v[10:13], v1 offset:416
	ds_load_b128 v[14:17], v1
	s_wait_dscnt 0x0
	v_add_f64_e32 v[10:11], v[10:11], v[14:15]
	v_add_f64_e32 v[12:13], v[12:13], v[16:17]
	ds_store_b128 v1, v[10:13]
.LBB102_12:
	s_or_b32 exec_lo, exec_lo, s0
	v_cmp_gt_u32_e32 vcc_lo, 13, v0
	s_wait_dscnt 0x0
	s_barrier_signal -1
	s_barrier_wait -1
	s_and_saveexec_b32 s0, vcc_lo
	s_cbranch_execz .LBB102_14
; %bb.13:
	ds_load_b128 v[10:13], v1 offset:208
	ds_load_b128 v[14:17], v1
	s_wait_dscnt 0x0
	v_add_f64_e32 v[10:11], v[10:11], v[14:15]
	v_add_f64_e32 v[12:13], v[12:13], v[16:17]
	ds_store_b128 v1, v[10:13]
.LBB102_14:
	s_or_b32 exec_lo, exec_lo, s0
	s_wait_dscnt 0x0
	s_barrier_signal -1
	s_barrier_wait -1
	s_and_b32 exec_lo, exec_lo, vcc_lo
	s_cbranch_execz .LBB102_19
; %bb.15:
	ds_load_b128 v[14:17], v1
	v_cmp_eq_f64_e32 vcc_lo, 0, v[2:3]
	v_cmp_eq_f64_e64 s0, 0, v[4:5]
	v_mad_u32 v0, s8, 13, v0
	s_wait_dscnt 0x0
	v_mul_f64_e64 v[10:11], v[16:17], -v[8:9]
	v_mul_f64_e32 v[12:13], v[6:7], v[16:17]
	s_and_b32 s0, vcc_lo, s0
	s_delay_alu instid0(VALU_DEP_2) | instskip(NEXT) | instid1(VALU_DEP_2)
	v_fmac_f64_e32 v[10:11], v[6:7], v[14:15]
	v_fmac_f64_e32 v[12:13], v[8:9], v[14:15]
	s_and_saveexec_b32 s1, s0
	s_delay_alu instid0(SALU_CYCLE_1)
	s_xor_b32 s0, exec_lo, s1
	s_cbranch_execz .LBB102_17
; %bb.16:
	s_wait_kmcnt 0x0
	global_store_b128 v0, v[10:13], s[2:3] scale_offset
                                        ; implicit-def: $vgpr0
                                        ; implicit-def: $vgpr2_vgpr3
                                        ; implicit-def: $vgpr10_vgpr11
.LBB102_17:
	s_wait_xcnt 0x0
	s_and_not1_saveexec_b32 s0, s0
	s_cbranch_execz .LBB102_19
; %bb.18:
	s_wait_kmcnt 0x0
	global_load_b128 v[6:9], v0, s[2:3] scale_offset
	s_wait_loadcnt 0x0
	v_fmac_f64_e32 v[10:11], v[2:3], v[6:7]
	v_fmac_f64_e32 v[12:13], v[4:5], v[6:7]
	s_delay_alu instid0(VALU_DEP_2) | instskip(NEXT) | instid1(VALU_DEP_2)
	v_fma_f64 v[10:11], -v[4:5], v[8:9], v[10:11]
	v_fmac_f64_e32 v[12:13], v[2:3], v[8:9]
	global_store_b128 v0, v[10:13], s[2:3] scale_offset
.LBB102_19:
	s_endpgm
	.section	.rodata,"a",@progbits
	.p2align	6, 0x0
	.amdhsa_kernel _ZN9rocsparseL22gebsrmvn_mxn_16_kernelILj52ELj13ELj1E21rocsparse_complex_numIdEEEvi20rocsparse_direction_NS_24const_host_device_scalarIT2_EEPKiS8_PKS5_iiSA_S6_PS5_21rocsparse_index_base_b
		.amdhsa_group_segment_fixed_size 832
		.amdhsa_private_segment_fixed_size 0
		.amdhsa_kernarg_size 96
		.amdhsa_user_sgpr_count 2
		.amdhsa_user_sgpr_dispatch_ptr 0
		.amdhsa_user_sgpr_queue_ptr 0
		.amdhsa_user_sgpr_kernarg_segment_ptr 1
		.amdhsa_user_sgpr_dispatch_id 0
		.amdhsa_user_sgpr_kernarg_preload_length 0
		.amdhsa_user_sgpr_kernarg_preload_offset 0
		.amdhsa_user_sgpr_private_segment_size 0
		.amdhsa_wavefront_size32 1
		.amdhsa_uses_dynamic_stack 0
		.amdhsa_enable_private_segment 0
		.amdhsa_system_sgpr_workgroup_id_x 1
		.amdhsa_system_sgpr_workgroup_id_y 0
		.amdhsa_system_sgpr_workgroup_id_z 0
		.amdhsa_system_sgpr_workgroup_info 0
		.amdhsa_system_vgpr_workitem_id 0
		.amdhsa_next_free_vgpr 24
		.amdhsa_next_free_sgpr 16
		.amdhsa_named_barrier_count 0
		.amdhsa_reserve_vcc 1
		.amdhsa_float_round_mode_32 0
		.amdhsa_float_round_mode_16_64 0
		.amdhsa_float_denorm_mode_32 3
		.amdhsa_float_denorm_mode_16_64 3
		.amdhsa_fp16_overflow 0
		.amdhsa_memory_ordered 1
		.amdhsa_forward_progress 1
		.amdhsa_inst_pref_size 7
		.amdhsa_round_robin_scheduling 0
		.amdhsa_exception_fp_ieee_invalid_op 0
		.amdhsa_exception_fp_denorm_src 0
		.amdhsa_exception_fp_ieee_div_zero 0
		.amdhsa_exception_fp_ieee_overflow 0
		.amdhsa_exception_fp_ieee_underflow 0
		.amdhsa_exception_fp_ieee_inexact 0
		.amdhsa_exception_int_div_zero 0
	.end_amdhsa_kernel
	.section	.text._ZN9rocsparseL22gebsrmvn_mxn_16_kernelILj52ELj13ELj1E21rocsparse_complex_numIdEEEvi20rocsparse_direction_NS_24const_host_device_scalarIT2_EEPKiS8_PKS5_iiSA_S6_PS5_21rocsparse_index_base_b,"axG",@progbits,_ZN9rocsparseL22gebsrmvn_mxn_16_kernelILj52ELj13ELj1E21rocsparse_complex_numIdEEEvi20rocsparse_direction_NS_24const_host_device_scalarIT2_EEPKiS8_PKS5_iiSA_S6_PS5_21rocsparse_index_base_b,comdat
.Lfunc_end102:
	.size	_ZN9rocsparseL22gebsrmvn_mxn_16_kernelILj52ELj13ELj1E21rocsparse_complex_numIdEEEvi20rocsparse_direction_NS_24const_host_device_scalarIT2_EEPKiS8_PKS5_iiSA_S6_PS5_21rocsparse_index_base_b, .Lfunc_end102-_ZN9rocsparseL22gebsrmvn_mxn_16_kernelILj52ELj13ELj1E21rocsparse_complex_numIdEEEvi20rocsparse_direction_NS_24const_host_device_scalarIT2_EEPKiS8_PKS5_iiSA_S6_PS5_21rocsparse_index_base_b
                                        ; -- End function
	.set _ZN9rocsparseL22gebsrmvn_mxn_16_kernelILj52ELj13ELj1E21rocsparse_complex_numIdEEEvi20rocsparse_direction_NS_24const_host_device_scalarIT2_EEPKiS8_PKS5_iiSA_S6_PS5_21rocsparse_index_base_b.num_vgpr, 24
	.set _ZN9rocsparseL22gebsrmvn_mxn_16_kernelILj52ELj13ELj1E21rocsparse_complex_numIdEEEvi20rocsparse_direction_NS_24const_host_device_scalarIT2_EEPKiS8_PKS5_iiSA_S6_PS5_21rocsparse_index_base_b.num_agpr, 0
	.set _ZN9rocsparseL22gebsrmvn_mxn_16_kernelILj52ELj13ELj1E21rocsparse_complex_numIdEEEvi20rocsparse_direction_NS_24const_host_device_scalarIT2_EEPKiS8_PKS5_iiSA_S6_PS5_21rocsparse_index_base_b.numbered_sgpr, 16
	.set _ZN9rocsparseL22gebsrmvn_mxn_16_kernelILj52ELj13ELj1E21rocsparse_complex_numIdEEEvi20rocsparse_direction_NS_24const_host_device_scalarIT2_EEPKiS8_PKS5_iiSA_S6_PS5_21rocsparse_index_base_b.num_named_barrier, 0
	.set _ZN9rocsparseL22gebsrmvn_mxn_16_kernelILj52ELj13ELj1E21rocsparse_complex_numIdEEEvi20rocsparse_direction_NS_24const_host_device_scalarIT2_EEPKiS8_PKS5_iiSA_S6_PS5_21rocsparse_index_base_b.private_seg_size, 0
	.set _ZN9rocsparseL22gebsrmvn_mxn_16_kernelILj52ELj13ELj1E21rocsparse_complex_numIdEEEvi20rocsparse_direction_NS_24const_host_device_scalarIT2_EEPKiS8_PKS5_iiSA_S6_PS5_21rocsparse_index_base_b.uses_vcc, 1
	.set _ZN9rocsparseL22gebsrmvn_mxn_16_kernelILj52ELj13ELj1E21rocsparse_complex_numIdEEEvi20rocsparse_direction_NS_24const_host_device_scalarIT2_EEPKiS8_PKS5_iiSA_S6_PS5_21rocsparse_index_base_b.uses_flat_scratch, 0
	.set _ZN9rocsparseL22gebsrmvn_mxn_16_kernelILj52ELj13ELj1E21rocsparse_complex_numIdEEEvi20rocsparse_direction_NS_24const_host_device_scalarIT2_EEPKiS8_PKS5_iiSA_S6_PS5_21rocsparse_index_base_b.has_dyn_sized_stack, 0
	.set _ZN9rocsparseL22gebsrmvn_mxn_16_kernelILj52ELj13ELj1E21rocsparse_complex_numIdEEEvi20rocsparse_direction_NS_24const_host_device_scalarIT2_EEPKiS8_PKS5_iiSA_S6_PS5_21rocsparse_index_base_b.has_recursion, 0
	.set _ZN9rocsparseL22gebsrmvn_mxn_16_kernelILj52ELj13ELj1E21rocsparse_complex_numIdEEEvi20rocsparse_direction_NS_24const_host_device_scalarIT2_EEPKiS8_PKS5_iiSA_S6_PS5_21rocsparse_index_base_b.has_indirect_call, 0
	.section	.AMDGPU.csdata,"",@progbits
; Kernel info:
; codeLenInByte = 824
; TotalNumSgprs: 18
; NumVgprs: 24
; ScratchSize: 0
; MemoryBound: 0
; FloatMode: 240
; IeeeMode: 1
; LDSByteSize: 832 bytes/workgroup (compile time only)
; SGPRBlocks: 0
; VGPRBlocks: 1
; NumSGPRsForWavesPerEU: 18
; NumVGPRsForWavesPerEU: 24
; NamedBarCnt: 0
; Occupancy: 16
; WaveLimiterHint : 1
; COMPUTE_PGM_RSRC2:SCRATCH_EN: 0
; COMPUTE_PGM_RSRC2:USER_SGPR: 2
; COMPUTE_PGM_RSRC2:TRAP_HANDLER: 0
; COMPUTE_PGM_RSRC2:TGID_X_EN: 1
; COMPUTE_PGM_RSRC2:TGID_Y_EN: 0
; COMPUTE_PGM_RSRC2:TGID_Z_EN: 0
; COMPUTE_PGM_RSRC2:TIDIG_COMP_CNT: 0
	.section	.text._ZN9rocsparseL22gebsrmvn_mxn_16_kernelILj52ELj13ELj2E21rocsparse_complex_numIdEEEvi20rocsparse_direction_NS_24const_host_device_scalarIT2_EEPKiS8_PKS5_iiSA_S6_PS5_21rocsparse_index_base_b,"axG",@progbits,_ZN9rocsparseL22gebsrmvn_mxn_16_kernelILj52ELj13ELj2E21rocsparse_complex_numIdEEEvi20rocsparse_direction_NS_24const_host_device_scalarIT2_EEPKiS8_PKS5_iiSA_S6_PS5_21rocsparse_index_base_b,comdat
	.globl	_ZN9rocsparseL22gebsrmvn_mxn_16_kernelILj52ELj13ELj2E21rocsparse_complex_numIdEEEvi20rocsparse_direction_NS_24const_host_device_scalarIT2_EEPKiS8_PKS5_iiSA_S6_PS5_21rocsparse_index_base_b ; -- Begin function _ZN9rocsparseL22gebsrmvn_mxn_16_kernelILj52ELj13ELj2E21rocsparse_complex_numIdEEEvi20rocsparse_direction_NS_24const_host_device_scalarIT2_EEPKiS8_PKS5_iiSA_S6_PS5_21rocsparse_index_base_b
	.p2align	8
	.type	_ZN9rocsparseL22gebsrmvn_mxn_16_kernelILj52ELj13ELj2E21rocsparse_complex_numIdEEEvi20rocsparse_direction_NS_24const_host_device_scalarIT2_EEPKiS8_PKS5_iiSA_S6_PS5_21rocsparse_index_base_b,@function
_ZN9rocsparseL22gebsrmvn_mxn_16_kernelILj52ELj13ELj2E21rocsparse_complex_numIdEEEvi20rocsparse_direction_NS_24const_host_device_scalarIT2_EEPKiS8_PKS5_iiSA_S6_PS5_21rocsparse_index_base_b: ; @_ZN9rocsparseL22gebsrmvn_mxn_16_kernelILj52ELj13ELj2E21rocsparse_complex_numIdEEEvi20rocsparse_direction_NS_24const_host_device_scalarIT2_EEPKiS8_PKS5_iiSA_S6_PS5_21rocsparse_index_base_b
; %bb.0:
	s_clause 0x1
	s_load_b64 s[10:11], s[0:1], 0x58
	s_load_b64 s[2:3], s[0:1], 0x8
	v_mov_b32_e32 v1, 0
	s_add_nc_u64 s[4:5], s[0:1], 8
	s_load_b64 s[6:7], s[0:1], 0x40
	s_wait_kmcnt 0x0
	s_bitcmp1_b32 s11, 0
	s_cselect_b32 s3, s5, s3
	s_cselect_b32 s2, s4, s2
	flat_load_b128 v[6:9], v1, s[2:3]
	s_wait_xcnt 0x0
	s_add_nc_u64 s[2:3], s[0:1], 64
	s_delay_alu instid0(SALU_CYCLE_1)
	s_cselect_b32 s3, s3, s7
	s_cselect_b32 s2, s2, s6
	flat_load_b128 v[2:5], v1, s[2:3]
	s_wait_loadcnt_dscnt 0x101
	v_cmp_eq_f64_e32 vcc_lo, 0, v[6:7]
	s_wait_xcnt 0x0
	v_cmp_eq_f64_e64 s2, 0, v[8:9]
	s_and_b32 s4, vcc_lo, s2
	s_mov_b32 s2, -1
	s_and_saveexec_b32 s3, s4
	s_cbranch_execz .LBB103_2
; %bb.1:
	s_wait_loadcnt_dscnt 0x0
	v_cmp_neq_f64_e32 vcc_lo, 1.0, v[2:3]
	v_cmp_neq_f64_e64 s2, 0, v[4:5]
	s_or_b32 s2, vcc_lo, s2
	s_delay_alu instid0(SALU_CYCLE_1)
	s_or_not1_b32 s2, s2, exec_lo
.LBB103_2:
	s_or_b32 exec_lo, exec_lo, s3
	s_and_saveexec_b32 s3, s2
	s_cbranch_execz .LBB103_29
; %bb.3:
	s_clause 0x1
	s_load_b32 s4, s[0:1], 0x4
	s_load_b64 s[2:3], s[0:1], 0x18
	v_and_b32_e32 v1, 1, v0
	s_delay_alu instid0(VALU_DEP_1) | instskip(SKIP_3) | instid1(SALU_CYCLE_1)
	v_mov_b32_e32 v14, v1
	s_wait_kmcnt 0x0
	s_cmp_lg_u32 s4, 1
	s_cselect_b32 s11, -1, 0
	s_and_b32 vcc_lo, exec_lo, s11
	s_cbranch_vccnz .LBB103_5
; %bb.4:
	v_mul_u32_u24_e32 v10, 0x13b2, v0
	s_delay_alu instid0(VALU_DEP_1)
	v_bfe_u32 v14, v10, 16, 1
.LBB103_5:
	s_bfe_u32 s4, ttmp6, 0x4000c
	s_and_b32 s5, ttmp6, 15
	s_add_co_i32 s4, s4, 1
	s_getreg_b32 s6, hwreg(HW_REG_IB_STS2, 6, 4)
	s_mul_i32 s4, ttmp9, s4
	v_mov_b64_e32 v[12:13], 0
	s_add_co_i32 s5, s5, s4
	s_cmp_eq_u32 s6, 0
	v_mov_b64_e32 v[10:11], 0
	s_cselect_b32 s8, ttmp9, s5
	s_delay_alu instid0(SALU_CYCLE_1) | instskip(NEXT) | instid1(SALU_CYCLE_1)
	s_ashr_i32 s9, s8, 31
	s_lshl_b64 s[4:5], s[8:9], 2
	s_delay_alu instid0(SALU_CYCLE_1)
	s_add_nc_u64 s[4:5], s[2:3], s[4:5]
	s_load_b64 s[14:15], s[4:5], 0x0
	s_load_b64 s[2:3], s[0:1], 0x50
	s_wait_kmcnt 0x0
	s_cmp_ge_i32 s14, s15
	s_cbranch_scc1 .LBB103_10
; %bb.6:
	s_clause 0x1
	s_load_b128 s[4:7], s[0:1], 0x20
	s_load_b64 s[12:13], s[0:1], 0x38
	v_mad_u32 v10, s14, 26, v0
	v_mov_b64_e32 v[12:13], 0
	v_mul_u32_u24_e32 v11, 0x9d9, v0
	s_wait_xcnt 0x0
	s_mul_i32 s0, s10, 26
	s_sub_co_i32 s1, s14, s10
	s_delay_alu instid0(VALU_DEP_1) | instskip(NEXT) | instid1(VALU_DEP_4)
	v_lshrrev_b32_e32 v15, 16, v11
	v_subrev_nc_u32_e32 v16, s0, v10
	v_mov_b64_e32 v[10:11], v[12:13]
	s_sub_co_i32 s0, s15, s10
	s_branch .LBB103_8
.LBB103_7:                              ;   in Loop: Header=BB103_8 Depth=1
	s_or_b32 exec_lo, exec_lo, s9
	v_add_nc_u32_e32 v16, 52, v16
	s_add_co_i32 s1, s1, 2
	s_delay_alu instid0(SALU_CYCLE_1)
	s_cmp_ge_i32 s1, s0
	s_cbranch_scc1 .LBB103_10
.LBB103_8:                              ; =>This Inner Loop Header: Depth=1
	v_add_nc_u32_e32 v17, s1, v15
	s_mov_b32 s9, exec_lo
	s_delay_alu instid0(VALU_DEP_1)
	v_cmpx_gt_i32_e64 s0, v17
	s_cbranch_execz .LBB103_7
; %bb.9:                                ;   in Loop: Header=BB103_8 Depth=1
	s_wait_kmcnt 0x0
	global_load_b32 v17, v17, s[4:5] scale_offset
	s_wait_loadcnt 0x0
	v_subrev_nc_u32_e32 v17, s10, v17
	s_delay_alu instid0(VALU_DEP_1)
	v_lshl_or_b32 v17, v17, 1, v14
	global_load_b128 v[18:21], v16, s[6:7] scale_offset
	global_load_b128 v[22:25], v17, s[12:13] scale_offset
	s_wait_loadcnt 0x0
	v_fmac_f64_e32 v[10:11], v[18:19], v[22:23]
	v_fmac_f64_e32 v[12:13], v[20:21], v[22:23]
	s_delay_alu instid0(VALU_DEP_2) | instskip(NEXT) | instid1(VALU_DEP_2)
	v_fma_f64 v[10:11], -v[20:21], v[24:25], v[10:11]
	v_fmac_f64_e32 v[12:13], v[18:19], v[24:25]
	s_branch .LBB103_7
.LBB103_10:
	v_lshlrev_b32_e32 v18, 4, v0
	s_mov_b32 s0, exec_lo
	ds_store_b128 v18, v[10:13]
	s_wait_loadcnt_dscnt 0x0
	s_barrier_signal -1
	s_barrier_wait -1
	v_cmpx_gt_u32_e32 26, v0
	s_cbranch_execz .LBB103_12
; %bb.11:
	ds_load_b128 v[14:17], v18 offset:416
	ds_load_b128 v[20:23], v18
	s_wait_dscnt 0x0
	v_add_f64_e32 v[14:15], v[14:15], v[20:21]
	v_add_f64_e32 v[16:17], v[16:17], v[22:23]
	ds_store_b128 v18, v[14:17]
.LBB103_12:
	s_or_b32 exec_lo, exec_lo, s0
	s_delay_alu instid0(SALU_CYCLE_1)
	s_and_b32 vcc_lo, exec_lo, s11
	s_wait_dscnt 0x0
	s_barrier_signal -1
	s_barrier_wait -1
	s_cbranch_vccz .LBB103_18
; %bb.13:
	s_mov_b32 s0, exec_lo
	v_cmpx_eq_u32_e32 0, v1
	s_cbranch_execz .LBB103_15
; %bb.14:
	ds_load_b128 v[14:17], v18
	ds_load_b128 v[20:23], v18 offset:16
	s_wait_dscnt 0x0
	v_add_f64_e32 v[14:15], v[20:21], v[14:15]
	v_add_f64_e32 v[16:17], v[22:23], v[16:17]
	ds_store_b128 v18, v[14:17]
.LBB103_15:
	s_or_b32 exec_lo, exec_lo, s0
	v_mov_b64_e32 v[16:17], v[12:13]
	v_mov_b64_e32 v[14:15], v[10:11]
	s_mov_b32 s0, exec_lo
	s_wait_dscnt 0x0
	s_barrier_signal -1
	s_barrier_wait -1
	v_cmpx_gt_u32_e32 13, v0
; %bb.16:
	v_lshl_add_u32 v1, v0, 4, v18
	ds_load_b128 v[14:17], v1
; %bb.17:
	s_or_b32 exec_lo, exec_lo, s0
	s_branch .LBB103_24
.LBB103_18:
                                        ; implicit-def: $vgpr16_vgpr17
	s_cbranch_execz .LBB103_24
; %bb.19:
	s_mov_b32 s0, exec_lo
	v_cmpx_lt_u32_e32 12, v0
	s_xor_b32 s0, exec_lo, s0
	s_cbranch_execz .LBB103_21
; %bb.20:
	s_wait_dscnt 0x0
                                        ; implicit-def: $vgpr18
.LBB103_21:
	s_and_not1_saveexec_b32 s0, s0
	s_cbranch_execz .LBB103_23
; %bb.22:
	ds_load_b128 v[10:13], v18 offset:208
	s_wait_dscnt 0x1
	ds_load_b128 v[14:17], v18
	s_wait_dscnt 0x0
	v_add_f64_e32 v[10:11], v[10:11], v[14:15]
	v_add_f64_e32 v[12:13], v[12:13], v[16:17]
	ds_store_b128 v18, v[10:13]
	s_wait_dscnt 0x0
	ds_load_b128 v[10:13], v18
.LBB103_23:
	s_or_b32 exec_lo, exec_lo, s0
	s_wait_dscnt 0x0
	v_mov_b64_e32 v[14:15], v[10:11]
	v_mov_b64_e32 v[16:17], v[12:13]
.LBB103_24:
	v_cmp_gt_u32_e32 vcc_lo, 13, v0
	s_and_b32 exec_lo, exec_lo, vcc_lo
	s_cbranch_execz .LBB103_29
; %bb.25:
	s_wait_dscnt 0x0
	s_delay_alu instid0(VALU_DEP_2)
	v_mul_f64_e64 v[10:11], v[16:17], -v[8:9]
	v_mul_f64_e32 v[12:13], v[6:7], v[16:17]
	v_cmp_eq_f64_e32 vcc_lo, 0, v[2:3]
	v_cmp_eq_f64_e64 s0, 0, v[4:5]
	v_mad_u32 v0, s8, 13, v0
	v_fmac_f64_e32 v[10:11], v[6:7], v[14:15]
	v_fmac_f64_e32 v[12:13], v[8:9], v[14:15]
	s_and_b32 s0, vcc_lo, s0
	s_delay_alu instid0(SALU_CYCLE_1) | instskip(NEXT) | instid1(SALU_CYCLE_1)
	s_and_saveexec_b32 s1, s0
	s_xor_b32 s0, exec_lo, s1
	s_cbranch_execz .LBB103_27
; %bb.26:
	global_store_b128 v0, v[10:13], s[2:3] scale_offset
                                        ; implicit-def: $vgpr0
                                        ; implicit-def: $vgpr2_vgpr3
                                        ; implicit-def: $vgpr10_vgpr11
.LBB103_27:
	s_wait_xcnt 0x0
	s_and_not1_saveexec_b32 s0, s0
	s_cbranch_execz .LBB103_29
; %bb.28:
	global_load_b128 v[6:9], v0, s[2:3] scale_offset
	s_wait_loadcnt 0x0
	v_fmac_f64_e32 v[10:11], v[2:3], v[6:7]
	v_fmac_f64_e32 v[12:13], v[4:5], v[6:7]
	s_delay_alu instid0(VALU_DEP_2) | instskip(NEXT) | instid1(VALU_DEP_2)
	v_fma_f64 v[10:11], -v[4:5], v[8:9], v[10:11]
	v_fmac_f64_e32 v[12:13], v[2:3], v[8:9]
	global_store_b128 v0, v[10:13], s[2:3] scale_offset
.LBB103_29:
	s_endpgm
	.section	.rodata,"a",@progbits
	.p2align	6, 0x0
	.amdhsa_kernel _ZN9rocsparseL22gebsrmvn_mxn_16_kernelILj52ELj13ELj2E21rocsparse_complex_numIdEEEvi20rocsparse_direction_NS_24const_host_device_scalarIT2_EEPKiS8_PKS5_iiSA_S6_PS5_21rocsparse_index_base_b
		.amdhsa_group_segment_fixed_size 832
		.amdhsa_private_segment_fixed_size 0
		.amdhsa_kernarg_size 96
		.amdhsa_user_sgpr_count 2
		.amdhsa_user_sgpr_dispatch_ptr 0
		.amdhsa_user_sgpr_queue_ptr 0
		.amdhsa_user_sgpr_kernarg_segment_ptr 1
		.amdhsa_user_sgpr_dispatch_id 0
		.amdhsa_user_sgpr_kernarg_preload_length 0
		.amdhsa_user_sgpr_kernarg_preload_offset 0
		.amdhsa_user_sgpr_private_segment_size 0
		.amdhsa_wavefront_size32 1
		.amdhsa_uses_dynamic_stack 0
		.amdhsa_enable_private_segment 0
		.amdhsa_system_sgpr_workgroup_id_x 1
		.amdhsa_system_sgpr_workgroup_id_y 0
		.amdhsa_system_sgpr_workgroup_id_z 0
		.amdhsa_system_sgpr_workgroup_info 0
		.amdhsa_system_vgpr_workitem_id 0
		.amdhsa_next_free_vgpr 26
		.amdhsa_next_free_sgpr 16
		.amdhsa_named_barrier_count 0
		.amdhsa_reserve_vcc 1
		.amdhsa_float_round_mode_32 0
		.amdhsa_float_round_mode_16_64 0
		.amdhsa_float_denorm_mode_32 3
		.amdhsa_float_denorm_mode_16_64 3
		.amdhsa_fp16_overflow 0
		.amdhsa_memory_ordered 1
		.amdhsa_forward_progress 1
		.amdhsa_inst_pref_size 8
		.amdhsa_round_robin_scheduling 0
		.amdhsa_exception_fp_ieee_invalid_op 0
		.amdhsa_exception_fp_denorm_src 0
		.amdhsa_exception_fp_ieee_div_zero 0
		.amdhsa_exception_fp_ieee_overflow 0
		.amdhsa_exception_fp_ieee_underflow 0
		.amdhsa_exception_fp_ieee_inexact 0
		.amdhsa_exception_int_div_zero 0
	.end_amdhsa_kernel
	.section	.text._ZN9rocsparseL22gebsrmvn_mxn_16_kernelILj52ELj13ELj2E21rocsparse_complex_numIdEEEvi20rocsparse_direction_NS_24const_host_device_scalarIT2_EEPKiS8_PKS5_iiSA_S6_PS5_21rocsparse_index_base_b,"axG",@progbits,_ZN9rocsparseL22gebsrmvn_mxn_16_kernelILj52ELj13ELj2E21rocsparse_complex_numIdEEEvi20rocsparse_direction_NS_24const_host_device_scalarIT2_EEPKiS8_PKS5_iiSA_S6_PS5_21rocsparse_index_base_b,comdat
.Lfunc_end103:
	.size	_ZN9rocsparseL22gebsrmvn_mxn_16_kernelILj52ELj13ELj2E21rocsparse_complex_numIdEEEvi20rocsparse_direction_NS_24const_host_device_scalarIT2_EEPKiS8_PKS5_iiSA_S6_PS5_21rocsparse_index_base_b, .Lfunc_end103-_ZN9rocsparseL22gebsrmvn_mxn_16_kernelILj52ELj13ELj2E21rocsparse_complex_numIdEEEvi20rocsparse_direction_NS_24const_host_device_scalarIT2_EEPKiS8_PKS5_iiSA_S6_PS5_21rocsparse_index_base_b
                                        ; -- End function
	.set _ZN9rocsparseL22gebsrmvn_mxn_16_kernelILj52ELj13ELj2E21rocsparse_complex_numIdEEEvi20rocsparse_direction_NS_24const_host_device_scalarIT2_EEPKiS8_PKS5_iiSA_S6_PS5_21rocsparse_index_base_b.num_vgpr, 26
	.set _ZN9rocsparseL22gebsrmvn_mxn_16_kernelILj52ELj13ELj2E21rocsparse_complex_numIdEEEvi20rocsparse_direction_NS_24const_host_device_scalarIT2_EEPKiS8_PKS5_iiSA_S6_PS5_21rocsparse_index_base_b.num_agpr, 0
	.set _ZN9rocsparseL22gebsrmvn_mxn_16_kernelILj52ELj13ELj2E21rocsparse_complex_numIdEEEvi20rocsparse_direction_NS_24const_host_device_scalarIT2_EEPKiS8_PKS5_iiSA_S6_PS5_21rocsparse_index_base_b.numbered_sgpr, 16
	.set _ZN9rocsparseL22gebsrmvn_mxn_16_kernelILj52ELj13ELj2E21rocsparse_complex_numIdEEEvi20rocsparse_direction_NS_24const_host_device_scalarIT2_EEPKiS8_PKS5_iiSA_S6_PS5_21rocsparse_index_base_b.num_named_barrier, 0
	.set _ZN9rocsparseL22gebsrmvn_mxn_16_kernelILj52ELj13ELj2E21rocsparse_complex_numIdEEEvi20rocsparse_direction_NS_24const_host_device_scalarIT2_EEPKiS8_PKS5_iiSA_S6_PS5_21rocsparse_index_base_b.private_seg_size, 0
	.set _ZN9rocsparseL22gebsrmvn_mxn_16_kernelILj52ELj13ELj2E21rocsparse_complex_numIdEEEvi20rocsparse_direction_NS_24const_host_device_scalarIT2_EEPKiS8_PKS5_iiSA_S6_PS5_21rocsparse_index_base_b.uses_vcc, 1
	.set _ZN9rocsparseL22gebsrmvn_mxn_16_kernelILj52ELj13ELj2E21rocsparse_complex_numIdEEEvi20rocsparse_direction_NS_24const_host_device_scalarIT2_EEPKiS8_PKS5_iiSA_S6_PS5_21rocsparse_index_base_b.uses_flat_scratch, 0
	.set _ZN9rocsparseL22gebsrmvn_mxn_16_kernelILj52ELj13ELj2E21rocsparse_complex_numIdEEEvi20rocsparse_direction_NS_24const_host_device_scalarIT2_EEPKiS8_PKS5_iiSA_S6_PS5_21rocsparse_index_base_b.has_dyn_sized_stack, 0
	.set _ZN9rocsparseL22gebsrmvn_mxn_16_kernelILj52ELj13ELj2E21rocsparse_complex_numIdEEEvi20rocsparse_direction_NS_24const_host_device_scalarIT2_EEPKiS8_PKS5_iiSA_S6_PS5_21rocsparse_index_base_b.has_recursion, 0
	.set _ZN9rocsparseL22gebsrmvn_mxn_16_kernelILj52ELj13ELj2E21rocsparse_complex_numIdEEEvi20rocsparse_direction_NS_24const_host_device_scalarIT2_EEPKiS8_PKS5_iiSA_S6_PS5_21rocsparse_index_base_b.has_indirect_call, 0
	.section	.AMDGPU.csdata,"",@progbits
; Kernel info:
; codeLenInByte = 1016
; TotalNumSgprs: 18
; NumVgprs: 26
; ScratchSize: 0
; MemoryBound: 0
; FloatMode: 240
; IeeeMode: 1
; LDSByteSize: 832 bytes/workgroup (compile time only)
; SGPRBlocks: 0
; VGPRBlocks: 1
; NumSGPRsForWavesPerEU: 18
; NumVGPRsForWavesPerEU: 26
; NamedBarCnt: 0
; Occupancy: 16
; WaveLimiterHint : 1
; COMPUTE_PGM_RSRC2:SCRATCH_EN: 0
; COMPUTE_PGM_RSRC2:USER_SGPR: 2
; COMPUTE_PGM_RSRC2:TRAP_HANDLER: 0
; COMPUTE_PGM_RSRC2:TGID_X_EN: 1
; COMPUTE_PGM_RSRC2:TGID_Y_EN: 0
; COMPUTE_PGM_RSRC2:TGID_Z_EN: 0
; COMPUTE_PGM_RSRC2:TIDIG_COMP_CNT: 0
	.section	.text._ZN9rocsparseL22gebsrmvn_mxn_16_kernelILj39ELj13ELj3E21rocsparse_complex_numIdEEEvi20rocsparse_direction_NS_24const_host_device_scalarIT2_EEPKiS8_PKS5_iiSA_S6_PS5_21rocsparse_index_base_b,"axG",@progbits,_ZN9rocsparseL22gebsrmvn_mxn_16_kernelILj39ELj13ELj3E21rocsparse_complex_numIdEEEvi20rocsparse_direction_NS_24const_host_device_scalarIT2_EEPKiS8_PKS5_iiSA_S6_PS5_21rocsparse_index_base_b,comdat
	.globl	_ZN9rocsparseL22gebsrmvn_mxn_16_kernelILj39ELj13ELj3E21rocsparse_complex_numIdEEEvi20rocsparse_direction_NS_24const_host_device_scalarIT2_EEPKiS8_PKS5_iiSA_S6_PS5_21rocsparse_index_base_b ; -- Begin function _ZN9rocsparseL22gebsrmvn_mxn_16_kernelILj39ELj13ELj3E21rocsparse_complex_numIdEEEvi20rocsparse_direction_NS_24const_host_device_scalarIT2_EEPKiS8_PKS5_iiSA_S6_PS5_21rocsparse_index_base_b
	.p2align	8
	.type	_ZN9rocsparseL22gebsrmvn_mxn_16_kernelILj39ELj13ELj3E21rocsparse_complex_numIdEEEvi20rocsparse_direction_NS_24const_host_device_scalarIT2_EEPKiS8_PKS5_iiSA_S6_PS5_21rocsparse_index_base_b,@function
_ZN9rocsparseL22gebsrmvn_mxn_16_kernelILj39ELj13ELj3E21rocsparse_complex_numIdEEEvi20rocsparse_direction_NS_24const_host_device_scalarIT2_EEPKiS8_PKS5_iiSA_S6_PS5_21rocsparse_index_base_b: ; @_ZN9rocsparseL22gebsrmvn_mxn_16_kernelILj39ELj13ELj3E21rocsparse_complex_numIdEEEvi20rocsparse_direction_NS_24const_host_device_scalarIT2_EEPKiS8_PKS5_iiSA_S6_PS5_21rocsparse_index_base_b
; %bb.0:
	s_clause 0x1
	s_load_b64 s[10:11], s[0:1], 0x58
	s_load_b64 s[2:3], s[0:1], 0x8
	v_mov_b32_e32 v1, 0
	s_add_nc_u64 s[4:5], s[0:1], 8
	s_load_b64 s[6:7], s[0:1], 0x40
	s_wait_kmcnt 0x0
	s_bitcmp1_b32 s11, 0
	s_cselect_b32 s3, s5, s3
	s_cselect_b32 s2, s4, s2
	flat_load_b128 v[6:9], v1, s[2:3]
	s_wait_xcnt 0x0
	s_add_nc_u64 s[2:3], s[0:1], 64
	s_delay_alu instid0(SALU_CYCLE_1)
	s_cselect_b32 s3, s3, s7
	s_cselect_b32 s2, s2, s6
	flat_load_b128 v[2:5], v1, s[2:3]
	s_wait_loadcnt_dscnt 0x101
	v_cmp_eq_f64_e32 vcc_lo, 0, v[6:7]
	s_wait_xcnt 0x0
	v_cmp_eq_f64_e64 s2, 0, v[8:9]
	s_and_b32 s4, vcc_lo, s2
	s_mov_b32 s2, -1
	s_and_saveexec_b32 s3, s4
	s_cbranch_execz .LBB104_2
; %bb.1:
	s_wait_loadcnt_dscnt 0x0
	v_cmp_neq_f64_e32 vcc_lo, 1.0, v[2:3]
	v_cmp_neq_f64_e64 s2, 0, v[4:5]
	s_or_b32 s2, vcc_lo, s2
	s_delay_alu instid0(SALU_CYCLE_1)
	s_or_not1_b32 s2, s2, exec_lo
.LBB104_2:
	s_or_b32 exec_lo, exec_lo, s3
	s_and_saveexec_b32 s3, s2
	s_cbranch_execz .LBB104_31
; %bb.3:
	v_mul_u32_u24_e32 v1, 0x5556, v0
	s_clause 0x1
	s_load_b32 s4, s[0:1], 0x4
	s_load_b64 s[2:3], s[0:1], 0x18
	v_and_b32_e32 v15, 0xffff, v0
	v_lshrrev_b32_e32 v1, 16, v1
	s_delay_alu instid0(VALU_DEP_1) | instskip(NEXT) | instid1(VALU_DEP_1)
	v_mul_lo_u16 v1, v1, 3
	v_sub_nc_u16 v1, v0, v1
	s_delay_alu instid0(VALU_DEP_1) | instskip(SKIP_3) | instid1(SALU_CYCLE_1)
	v_and_b32_e32 v14, 0xffff, v1
	s_wait_kmcnt 0x0
	s_cmp_lg_u32 s4, 1
	s_cselect_b32 s11, -1, 0
	s_and_b32 vcc_lo, exec_lo, s11
	v_mov_b32_e32 v1, v14
	s_cbranch_vccnz .LBB104_5
; %bb.4:
	v_mul_u32_u24_e32 v1, 0x13b2, v15
	s_delay_alu instid0(VALU_DEP_1) | instskip(NEXT) | instid1(VALU_DEP_1)
	v_lshrrev_b32_e32 v1, 16, v1
	v_mul_lo_u16 v10, 0x56, v1
	s_delay_alu instid0(VALU_DEP_1) | instskip(NEXT) | instid1(VALU_DEP_1)
	v_lshrrev_b16 v10, 8, v10
	v_mul_lo_u16 v10, v10, 3
	s_delay_alu instid0(VALU_DEP_1) | instskip(NEXT) | instid1(VALU_DEP_1)
	v_sub_nc_u16 v1, v1, v10
	v_and_b32_e32 v1, 0xff, v1
.LBB104_5:
	s_bfe_u32 s4, ttmp6, 0x4000c
	s_and_b32 s5, ttmp6, 15
	s_add_co_i32 s4, s4, 1
	s_getreg_b32 s6, hwreg(HW_REG_IB_STS2, 6, 4)
	s_mul_i32 s4, ttmp9, s4
	v_mov_b64_e32 v[12:13], 0
	s_add_co_i32 s5, s5, s4
	s_cmp_eq_u32 s6, 0
	v_mov_b64_e32 v[10:11], 0
	s_cselect_b32 s8, ttmp9, s5
	s_delay_alu instid0(SALU_CYCLE_1) | instskip(NEXT) | instid1(SALU_CYCLE_1)
	s_ashr_i32 s9, s8, 31
	s_lshl_b64 s[4:5], s[8:9], 2
	s_delay_alu instid0(SALU_CYCLE_1)
	s_add_nc_u64 s[4:5], s[2:3], s[4:5]
	s_load_b64 s[14:15], s[4:5], 0x0
	s_load_b64 s[2:3], s[0:1], 0x50
	s_wait_kmcnt 0x0
	s_cmp_ge_i32 s14, s15
	s_cbranch_scc1 .LBB104_10
; %bb.6:
	s_clause 0x1
	s_load_b128 s[4:7], s[0:1], 0x20
	s_load_b64 s[12:13], s[0:1], 0x38
	v_mad_u32 v10, s14, 39, v0
	v_mov_b64_e32 v[12:13], 0
	v_mul_u32_u24_e32 v11, 0x691, v15
	s_wait_xcnt 0x0
	s_mul_i32 s0, s10, 39
	s_sub_co_i32 s1, s14, s10
	s_delay_alu instid0(VALU_DEP_1) | instskip(NEXT) | instid1(VALU_DEP_4)
	v_lshrrev_b32_e32 v15, 16, v11
	v_subrev_nc_u32_e32 v16, s0, v10
	v_mov_b64_e32 v[10:11], v[12:13]
	s_sub_co_i32 s0, s15, s10
	s_branch .LBB104_8
.LBB104_7:                              ;   in Loop: Header=BB104_8 Depth=1
	s_or_b32 exec_lo, exec_lo, s9
	v_add_nc_u32_e32 v16, 39, v16
	s_add_co_i32 s1, s1, 1
	s_delay_alu instid0(SALU_CYCLE_1)
	s_cmp_ge_i32 s1, s0
	s_cbranch_scc1 .LBB104_10
.LBB104_8:                              ; =>This Inner Loop Header: Depth=1
	v_add_nc_u32_e32 v17, s1, v15
	s_mov_b32 s9, exec_lo
	s_delay_alu instid0(VALU_DEP_1)
	v_cmpx_gt_i32_e64 s0, v17
	s_cbranch_execz .LBB104_7
; %bb.9:                                ;   in Loop: Header=BB104_8 Depth=1
	s_wait_kmcnt 0x0
	global_load_b32 v17, v17, s[4:5] scale_offset
	s_wait_loadcnt 0x0
	v_subrev_nc_u32_e32 v17, s10, v17
	s_delay_alu instid0(VALU_DEP_1)
	v_mad_u32 v17, v17, 3, v1
	global_load_b128 v[18:21], v16, s[6:7] scale_offset
	global_load_b128 v[22:25], v17, s[12:13] scale_offset
	s_wait_loadcnt 0x0
	v_fmac_f64_e32 v[10:11], v[18:19], v[22:23]
	v_fmac_f64_e32 v[12:13], v[20:21], v[22:23]
	s_delay_alu instid0(VALU_DEP_2) | instskip(NEXT) | instid1(VALU_DEP_2)
	v_fma_f64 v[10:11], -v[20:21], v[24:25], v[10:11]
	v_fmac_f64_e32 v[12:13], v[18:19], v[24:25]
	s_branch .LBB104_7
.LBB104_10:
	v_lshlrev_b32_e32 v1, 4, v0
	s_and_b32 vcc_lo, exec_lo, s11
	ds_store_b128 v1, v[10:13]
	s_wait_loadcnt_dscnt 0x0
	s_barrier_signal -1
	s_barrier_wait -1
	s_cbranch_vccz .LBB104_18
; %bb.11:
	v_cmp_eq_u16_e32 vcc_lo, 0, v14
	s_and_saveexec_b32 s0, vcc_lo
	s_cbranch_execz .LBB104_13
; %bb.12:
	ds_load_b128 v[14:17], v1
	ds_load_b128 v[18:21], v1 offset:32
	s_wait_dscnt 0x0
	v_add_f64_e32 v[14:15], v[18:19], v[14:15]
	v_add_f64_e32 v[16:17], v[20:21], v[16:17]
	ds_store_b128 v1, v[14:17]
.LBB104_13:
	s_or_b32 exec_lo, exec_lo, s0
	s_wait_dscnt 0x0
	s_barrier_signal -1
	s_barrier_wait -1
	s_and_saveexec_b32 s0, vcc_lo
	s_cbranch_execz .LBB104_15
; %bb.14:
	ds_load_b128 v[14:17], v1
	ds_load_b128 v[18:21], v1 offset:16
	s_wait_dscnt 0x0
	v_add_f64_e32 v[14:15], v[18:19], v[14:15]
	v_add_f64_e32 v[16:17], v[20:21], v[16:17]
	ds_store_b128 v1, v[14:17]
.LBB104_15:
	s_or_b32 exec_lo, exec_lo, s0
	v_mov_b64_e32 v[16:17], v[12:13]
	v_mov_b64_e32 v[14:15], v[10:11]
	s_mov_b32 s0, exec_lo
	s_wait_dscnt 0x0
	s_barrier_signal -1
	s_barrier_wait -1
	v_cmpx_gt_u32_e32 13, v0
; %bb.16:
	v_lshl_add_u32 v14, v0, 5, v1
	ds_load_b128 v[14:17], v14
; %bb.17:
	s_or_b32 exec_lo, exec_lo, s0
	v_cmp_gt_u32_e64 s0, 13, v0
	s_branch .LBB104_26
.LBB104_18:
                                        ; implicit-def: $vgpr16_vgpr17
	v_cmp_gt_u32_e64 s0, 13, v0
	s_cbranch_execz .LBB104_26
; %bb.19:
	v_cmp_lt_u32_e32 vcc_lo, 12, v0
	s_and_saveexec_b32 s1, s0
	s_cbranch_execz .LBB104_21
; %bb.20:
	s_wait_dscnt 0x0
	ds_load_b128 v[14:17], v1 offset:416
	ds_load_b128 v[18:21], v1
	s_wait_dscnt 0x0
	v_add_f64_e32 v[14:15], v[14:15], v[18:19]
	v_add_f64_e32 v[16:17], v[16:17], v[20:21]
	ds_store_b128 v1, v[14:17]
.LBB104_21:
	s_or_b32 exec_lo, exec_lo, s1
	s_wait_dscnt 0x0
	s_barrier_signal -1
	s_barrier_wait -1
	s_and_saveexec_b32 s0, vcc_lo
	s_delay_alu instid0(SALU_CYCLE_1)
	s_xor_b32 s0, exec_lo, s0
; %bb.22:
                                        ; implicit-def: $vgpr1
; %bb.23:
	s_delay_alu instid0(SALU_CYCLE_1)
	s_and_not1_saveexec_b32 s0, s0
	s_cbranch_execz .LBB104_25
; %bb.24:
	ds_load_b128 v[10:13], v1 offset:208
	ds_load_b128 v[14:17], v1
	s_wait_dscnt 0x0
	v_add_f64_e32 v[10:11], v[10:11], v[14:15]
	v_add_f64_e32 v[12:13], v[12:13], v[16:17]
	ds_store_b128 v1, v[10:13]
	s_wait_dscnt 0x0
	ds_load_b128 v[10:13], v1
.LBB104_25:
	s_or_b32 exec_lo, exec_lo, s0
	s_wait_dscnt 0x0
	v_mov_b64_e32 v[16:17], v[12:13]
	v_mov_b64_e32 v[14:15], v[10:11]
.LBB104_26:
	v_cmp_gt_u32_e32 vcc_lo, 13, v0
	s_and_b32 exec_lo, exec_lo, vcc_lo
	s_cbranch_execz .LBB104_31
; %bb.27:
	s_wait_dscnt 0x0
	s_delay_alu instid0(VALU_DEP_3)
	v_mul_f64_e64 v[10:11], v[16:17], -v[8:9]
	v_mul_f64_e32 v[12:13], v[6:7], v[16:17]
	v_cmp_eq_f64_e32 vcc_lo, 0, v[2:3]
	v_cmp_eq_f64_e64 s0, 0, v[4:5]
	v_mad_u32 v0, s8, 13, v0
	v_fmac_f64_e32 v[10:11], v[6:7], v[14:15]
	v_fmac_f64_e32 v[12:13], v[8:9], v[14:15]
	s_and_b32 s0, vcc_lo, s0
	s_delay_alu instid0(SALU_CYCLE_1) | instskip(NEXT) | instid1(SALU_CYCLE_1)
	s_and_saveexec_b32 s1, s0
	s_xor_b32 s0, exec_lo, s1
	s_cbranch_execz .LBB104_29
; %bb.28:
	global_store_b128 v0, v[10:13], s[2:3] scale_offset
                                        ; implicit-def: $vgpr0
                                        ; implicit-def: $vgpr2_vgpr3
                                        ; implicit-def: $vgpr10_vgpr11
.LBB104_29:
	s_wait_xcnt 0x0
	s_and_not1_saveexec_b32 s0, s0
	s_cbranch_execz .LBB104_31
; %bb.30:
	global_load_b128 v[6:9], v0, s[2:3] scale_offset
	s_wait_loadcnt 0x0
	v_fmac_f64_e32 v[10:11], v[2:3], v[6:7]
	v_fmac_f64_e32 v[12:13], v[4:5], v[6:7]
	s_delay_alu instid0(VALU_DEP_2) | instskip(NEXT) | instid1(VALU_DEP_2)
	v_fma_f64 v[10:11], -v[4:5], v[8:9], v[10:11]
	v_fmac_f64_e32 v[12:13], v[2:3], v[8:9]
	global_store_b128 v0, v[10:13], s[2:3] scale_offset
.LBB104_31:
	s_endpgm
	.section	.rodata,"a",@progbits
	.p2align	6, 0x0
	.amdhsa_kernel _ZN9rocsparseL22gebsrmvn_mxn_16_kernelILj39ELj13ELj3E21rocsparse_complex_numIdEEEvi20rocsparse_direction_NS_24const_host_device_scalarIT2_EEPKiS8_PKS5_iiSA_S6_PS5_21rocsparse_index_base_b
		.amdhsa_group_segment_fixed_size 624
		.amdhsa_private_segment_fixed_size 0
		.amdhsa_kernarg_size 96
		.amdhsa_user_sgpr_count 2
		.amdhsa_user_sgpr_dispatch_ptr 0
		.amdhsa_user_sgpr_queue_ptr 0
		.amdhsa_user_sgpr_kernarg_segment_ptr 1
		.amdhsa_user_sgpr_dispatch_id 0
		.amdhsa_user_sgpr_kernarg_preload_length 0
		.amdhsa_user_sgpr_kernarg_preload_offset 0
		.amdhsa_user_sgpr_private_segment_size 0
		.amdhsa_wavefront_size32 1
		.amdhsa_uses_dynamic_stack 0
		.amdhsa_enable_private_segment 0
		.amdhsa_system_sgpr_workgroup_id_x 1
		.amdhsa_system_sgpr_workgroup_id_y 0
		.amdhsa_system_sgpr_workgroup_id_z 0
		.amdhsa_system_sgpr_workgroup_info 0
		.amdhsa_system_vgpr_workitem_id 0
		.amdhsa_next_free_vgpr 26
		.amdhsa_next_free_sgpr 16
		.amdhsa_named_barrier_count 0
		.amdhsa_reserve_vcc 1
		.amdhsa_float_round_mode_32 0
		.amdhsa_float_round_mode_16_64 0
		.amdhsa_float_denorm_mode_32 3
		.amdhsa_float_denorm_mode_16_64 3
		.amdhsa_fp16_overflow 0
		.amdhsa_memory_ordered 1
		.amdhsa_forward_progress 1
		.amdhsa_inst_pref_size 10
		.amdhsa_round_robin_scheduling 0
		.amdhsa_exception_fp_ieee_invalid_op 0
		.amdhsa_exception_fp_denorm_src 0
		.amdhsa_exception_fp_ieee_div_zero 0
		.amdhsa_exception_fp_ieee_overflow 0
		.amdhsa_exception_fp_ieee_underflow 0
		.amdhsa_exception_fp_ieee_inexact 0
		.amdhsa_exception_int_div_zero 0
	.end_amdhsa_kernel
	.section	.text._ZN9rocsparseL22gebsrmvn_mxn_16_kernelILj39ELj13ELj3E21rocsparse_complex_numIdEEEvi20rocsparse_direction_NS_24const_host_device_scalarIT2_EEPKiS8_PKS5_iiSA_S6_PS5_21rocsparse_index_base_b,"axG",@progbits,_ZN9rocsparseL22gebsrmvn_mxn_16_kernelILj39ELj13ELj3E21rocsparse_complex_numIdEEEvi20rocsparse_direction_NS_24const_host_device_scalarIT2_EEPKiS8_PKS5_iiSA_S6_PS5_21rocsparse_index_base_b,comdat
.Lfunc_end104:
	.size	_ZN9rocsparseL22gebsrmvn_mxn_16_kernelILj39ELj13ELj3E21rocsparse_complex_numIdEEEvi20rocsparse_direction_NS_24const_host_device_scalarIT2_EEPKiS8_PKS5_iiSA_S6_PS5_21rocsparse_index_base_b, .Lfunc_end104-_ZN9rocsparseL22gebsrmvn_mxn_16_kernelILj39ELj13ELj3E21rocsparse_complex_numIdEEEvi20rocsparse_direction_NS_24const_host_device_scalarIT2_EEPKiS8_PKS5_iiSA_S6_PS5_21rocsparse_index_base_b
                                        ; -- End function
	.set _ZN9rocsparseL22gebsrmvn_mxn_16_kernelILj39ELj13ELj3E21rocsparse_complex_numIdEEEvi20rocsparse_direction_NS_24const_host_device_scalarIT2_EEPKiS8_PKS5_iiSA_S6_PS5_21rocsparse_index_base_b.num_vgpr, 26
	.set _ZN9rocsparseL22gebsrmvn_mxn_16_kernelILj39ELj13ELj3E21rocsparse_complex_numIdEEEvi20rocsparse_direction_NS_24const_host_device_scalarIT2_EEPKiS8_PKS5_iiSA_S6_PS5_21rocsparse_index_base_b.num_agpr, 0
	.set _ZN9rocsparseL22gebsrmvn_mxn_16_kernelILj39ELj13ELj3E21rocsparse_complex_numIdEEEvi20rocsparse_direction_NS_24const_host_device_scalarIT2_EEPKiS8_PKS5_iiSA_S6_PS5_21rocsparse_index_base_b.numbered_sgpr, 16
	.set _ZN9rocsparseL22gebsrmvn_mxn_16_kernelILj39ELj13ELj3E21rocsparse_complex_numIdEEEvi20rocsparse_direction_NS_24const_host_device_scalarIT2_EEPKiS8_PKS5_iiSA_S6_PS5_21rocsparse_index_base_b.num_named_barrier, 0
	.set _ZN9rocsparseL22gebsrmvn_mxn_16_kernelILj39ELj13ELj3E21rocsparse_complex_numIdEEEvi20rocsparse_direction_NS_24const_host_device_scalarIT2_EEPKiS8_PKS5_iiSA_S6_PS5_21rocsparse_index_base_b.private_seg_size, 0
	.set _ZN9rocsparseL22gebsrmvn_mxn_16_kernelILj39ELj13ELj3E21rocsparse_complex_numIdEEEvi20rocsparse_direction_NS_24const_host_device_scalarIT2_EEPKiS8_PKS5_iiSA_S6_PS5_21rocsparse_index_base_b.uses_vcc, 1
	.set _ZN9rocsparseL22gebsrmvn_mxn_16_kernelILj39ELj13ELj3E21rocsparse_complex_numIdEEEvi20rocsparse_direction_NS_24const_host_device_scalarIT2_EEPKiS8_PKS5_iiSA_S6_PS5_21rocsparse_index_base_b.uses_flat_scratch, 0
	.set _ZN9rocsparseL22gebsrmvn_mxn_16_kernelILj39ELj13ELj3E21rocsparse_complex_numIdEEEvi20rocsparse_direction_NS_24const_host_device_scalarIT2_EEPKiS8_PKS5_iiSA_S6_PS5_21rocsparse_index_base_b.has_dyn_sized_stack, 0
	.set _ZN9rocsparseL22gebsrmvn_mxn_16_kernelILj39ELj13ELj3E21rocsparse_complex_numIdEEEvi20rocsparse_direction_NS_24const_host_device_scalarIT2_EEPKiS8_PKS5_iiSA_S6_PS5_21rocsparse_index_base_b.has_recursion, 0
	.set _ZN9rocsparseL22gebsrmvn_mxn_16_kernelILj39ELj13ELj3E21rocsparse_complex_numIdEEEvi20rocsparse_direction_NS_24const_host_device_scalarIT2_EEPKiS8_PKS5_iiSA_S6_PS5_21rocsparse_index_base_b.has_indirect_call, 0
	.section	.AMDGPU.csdata,"",@progbits
; Kernel info:
; codeLenInByte = 1176
; TotalNumSgprs: 18
; NumVgprs: 26
; ScratchSize: 0
; MemoryBound: 0
; FloatMode: 240
; IeeeMode: 1
; LDSByteSize: 624 bytes/workgroup (compile time only)
; SGPRBlocks: 0
; VGPRBlocks: 1
; NumSGPRsForWavesPerEU: 18
; NumVGPRsForWavesPerEU: 26
; NamedBarCnt: 0
; Occupancy: 16
; WaveLimiterHint : 1
; COMPUTE_PGM_RSRC2:SCRATCH_EN: 0
; COMPUTE_PGM_RSRC2:USER_SGPR: 2
; COMPUTE_PGM_RSRC2:TRAP_HANDLER: 0
; COMPUTE_PGM_RSRC2:TGID_X_EN: 1
; COMPUTE_PGM_RSRC2:TGID_Y_EN: 0
; COMPUTE_PGM_RSRC2:TGID_Z_EN: 0
; COMPUTE_PGM_RSRC2:TIDIG_COMP_CNT: 0
	.section	.text._ZN9rocsparseL22gebsrmvn_mxn_16_kernelILj52ELj13ELj4E21rocsparse_complex_numIdEEEvi20rocsparse_direction_NS_24const_host_device_scalarIT2_EEPKiS8_PKS5_iiSA_S6_PS5_21rocsparse_index_base_b,"axG",@progbits,_ZN9rocsparseL22gebsrmvn_mxn_16_kernelILj52ELj13ELj4E21rocsparse_complex_numIdEEEvi20rocsparse_direction_NS_24const_host_device_scalarIT2_EEPKiS8_PKS5_iiSA_S6_PS5_21rocsparse_index_base_b,comdat
	.globl	_ZN9rocsparseL22gebsrmvn_mxn_16_kernelILj52ELj13ELj4E21rocsparse_complex_numIdEEEvi20rocsparse_direction_NS_24const_host_device_scalarIT2_EEPKiS8_PKS5_iiSA_S6_PS5_21rocsparse_index_base_b ; -- Begin function _ZN9rocsparseL22gebsrmvn_mxn_16_kernelILj52ELj13ELj4E21rocsparse_complex_numIdEEEvi20rocsparse_direction_NS_24const_host_device_scalarIT2_EEPKiS8_PKS5_iiSA_S6_PS5_21rocsparse_index_base_b
	.p2align	8
	.type	_ZN9rocsparseL22gebsrmvn_mxn_16_kernelILj52ELj13ELj4E21rocsparse_complex_numIdEEEvi20rocsparse_direction_NS_24const_host_device_scalarIT2_EEPKiS8_PKS5_iiSA_S6_PS5_21rocsparse_index_base_b,@function
_ZN9rocsparseL22gebsrmvn_mxn_16_kernelILj52ELj13ELj4E21rocsparse_complex_numIdEEEvi20rocsparse_direction_NS_24const_host_device_scalarIT2_EEPKiS8_PKS5_iiSA_S6_PS5_21rocsparse_index_base_b: ; @_ZN9rocsparseL22gebsrmvn_mxn_16_kernelILj52ELj13ELj4E21rocsparse_complex_numIdEEEvi20rocsparse_direction_NS_24const_host_device_scalarIT2_EEPKiS8_PKS5_iiSA_S6_PS5_21rocsparse_index_base_b
; %bb.0:
	s_clause 0x1
	s_load_b64 s[10:11], s[0:1], 0x58
	s_load_b64 s[2:3], s[0:1], 0x8
	v_mov_b32_e32 v1, 0
	s_add_nc_u64 s[4:5], s[0:1], 8
	s_load_b64 s[6:7], s[0:1], 0x40
	s_wait_kmcnt 0x0
	s_bitcmp1_b32 s11, 0
	s_cselect_b32 s3, s5, s3
	s_cselect_b32 s2, s4, s2
	flat_load_b128 v[6:9], v1, s[2:3]
	s_wait_xcnt 0x0
	s_add_nc_u64 s[2:3], s[0:1], 64
	s_delay_alu instid0(SALU_CYCLE_1)
	s_cselect_b32 s3, s3, s7
	s_cselect_b32 s2, s2, s6
	flat_load_b128 v[2:5], v1, s[2:3]
	s_wait_loadcnt_dscnt 0x101
	v_cmp_eq_f64_e32 vcc_lo, 0, v[6:7]
	s_wait_xcnt 0x0
	v_cmp_eq_f64_e64 s2, 0, v[8:9]
	s_and_b32 s4, vcc_lo, s2
	s_mov_b32 s2, -1
	s_and_saveexec_b32 s3, s4
	s_cbranch_execz .LBB105_2
; %bb.1:
	s_wait_loadcnt_dscnt 0x0
	v_cmp_neq_f64_e32 vcc_lo, 1.0, v[2:3]
	v_cmp_neq_f64_e64 s2, 0, v[4:5]
	s_or_b32 s2, vcc_lo, s2
	s_delay_alu instid0(SALU_CYCLE_1)
	s_or_not1_b32 s2, s2, exec_lo
.LBB105_2:
	s_or_b32 exec_lo, exec_lo, s3
	s_and_saveexec_b32 s3, s2
	s_cbranch_execz .LBB105_31
; %bb.3:
	s_clause 0x1
	s_load_b32 s4, s[0:1], 0x4
	s_load_b64 s[2:3], s[0:1], 0x18
	v_and_b32_e32 v14, 3, v0
	s_delay_alu instid0(VALU_DEP_1) | instskip(SKIP_3) | instid1(SALU_CYCLE_1)
	v_mov_b32_e32 v1, v14
	s_wait_kmcnt 0x0
	s_cmp_lg_u32 s4, 1
	s_cselect_b32 s11, -1, 0
	s_and_b32 vcc_lo, exec_lo, s11
	s_cbranch_vccnz .LBB105_5
; %bb.4:
	v_mul_u32_u24_e32 v1, 0x13b2, v0
	s_delay_alu instid0(VALU_DEP_1)
	v_bfe_u32 v1, v1, 16, 2
.LBB105_5:
	s_bfe_u32 s4, ttmp6, 0x4000c
	s_and_b32 s5, ttmp6, 15
	s_add_co_i32 s4, s4, 1
	s_getreg_b32 s6, hwreg(HW_REG_IB_STS2, 6, 4)
	s_mul_i32 s4, ttmp9, s4
	v_mov_b64_e32 v[12:13], 0
	s_add_co_i32 s5, s5, s4
	s_cmp_eq_u32 s6, 0
	v_mov_b64_e32 v[10:11], 0
	s_cselect_b32 s8, ttmp9, s5
	s_delay_alu instid0(SALU_CYCLE_1) | instskip(NEXT) | instid1(SALU_CYCLE_1)
	s_ashr_i32 s9, s8, 31
	s_lshl_b64 s[4:5], s[8:9], 2
	s_delay_alu instid0(SALU_CYCLE_1)
	s_add_nc_u64 s[4:5], s[2:3], s[4:5]
	s_load_b64 s[14:15], s[4:5], 0x0
	s_load_b64 s[2:3], s[0:1], 0x50
	s_wait_kmcnt 0x0
	s_cmp_ge_i32 s14, s15
	s_cbranch_scc1 .LBB105_10
; %bb.6:
	s_clause 0x1
	s_load_b128 s[4:7], s[0:1], 0x20
	s_load_b64 s[12:13], s[0:1], 0x38
	v_mad_u32 v10, s14, 52, v0
	v_mov_b64_e32 v[12:13], 0
	v_mul_u32_u24_e32 v11, 0x4ed, v0
	s_wait_xcnt 0x0
	s_mul_i32 s0, s10, 52
	s_sub_co_i32 s1, s14, s10
	s_delay_alu instid0(VALU_DEP_1) | instskip(NEXT) | instid1(VALU_DEP_4)
	v_lshrrev_b32_e32 v15, 16, v11
	v_subrev_nc_u32_e32 v16, s0, v10
	v_mov_b64_e32 v[10:11], v[12:13]
	s_sub_co_i32 s0, s15, s10
	s_branch .LBB105_8
.LBB105_7:                              ;   in Loop: Header=BB105_8 Depth=1
	s_or_b32 exec_lo, exec_lo, s9
	v_add_nc_u32_e32 v16, 52, v16
	s_add_co_i32 s1, s1, 1
	s_delay_alu instid0(SALU_CYCLE_1)
	s_cmp_ge_i32 s1, s0
	s_cbranch_scc1 .LBB105_10
.LBB105_8:                              ; =>This Inner Loop Header: Depth=1
	v_add_nc_u32_e32 v17, s1, v15
	s_mov_b32 s9, exec_lo
	s_delay_alu instid0(VALU_DEP_1)
	v_cmpx_gt_i32_e64 s0, v17
	s_cbranch_execz .LBB105_7
; %bb.9:                                ;   in Loop: Header=BB105_8 Depth=1
	s_wait_kmcnt 0x0
	global_load_b32 v17, v17, s[4:5] scale_offset
	s_wait_loadcnt 0x0
	v_subrev_nc_u32_e32 v17, s10, v17
	s_delay_alu instid0(VALU_DEP_1)
	v_lshl_or_b32 v17, v17, 2, v1
	global_load_b128 v[18:21], v16, s[6:7] scale_offset
	global_load_b128 v[22:25], v17, s[12:13] scale_offset
	s_wait_loadcnt 0x0
	v_fmac_f64_e32 v[10:11], v[18:19], v[22:23]
	v_fmac_f64_e32 v[12:13], v[20:21], v[22:23]
	s_delay_alu instid0(VALU_DEP_2) | instskip(NEXT) | instid1(VALU_DEP_2)
	v_fma_f64 v[10:11], -v[20:21], v[24:25], v[10:11]
	v_fmac_f64_e32 v[12:13], v[18:19], v[24:25]
	s_branch .LBB105_7
.LBB105_10:
	v_lshlrev_b32_e32 v1, 4, v0
	s_and_b32 vcc_lo, exec_lo, s11
	ds_store_b128 v1, v[10:13]
	s_wait_loadcnt_dscnt 0x0
	s_barrier_signal -1
	s_barrier_wait -1
	s_cbranch_vccz .LBB105_18
; %bb.11:
	s_mov_b32 s0, exec_lo
	v_cmpx_gt_u32_e32 2, v14
	s_cbranch_execz .LBB105_13
; %bb.12:
	ds_load_b128 v[16:19], v1
	ds_load_b128 v[20:23], v1 offset:32
	s_wait_dscnt 0x0
	v_add_f64_e32 v[16:17], v[20:21], v[16:17]
	v_add_f64_e32 v[18:19], v[22:23], v[18:19]
	ds_store_b128 v1, v[16:19]
.LBB105_13:
	s_or_b32 exec_lo, exec_lo, s0
	s_delay_alu instid0(SALU_CYCLE_1)
	s_mov_b32 s0, exec_lo
	s_wait_dscnt 0x0
	s_barrier_signal -1
	s_barrier_wait -1
	v_cmpx_eq_u32_e32 0, v14
	s_cbranch_execz .LBB105_15
; %bb.14:
	ds_load_b128 v[14:17], v1
	ds_load_b128 v[18:21], v1 offset:16
	s_wait_dscnt 0x0
	v_add_f64_e32 v[14:15], v[18:19], v[14:15]
	v_add_f64_e32 v[16:17], v[20:21], v[16:17]
	ds_store_b128 v1, v[14:17]
.LBB105_15:
	s_or_b32 exec_lo, exec_lo, s0
	v_mov_b64_e32 v[16:17], v[12:13]
	v_mov_b64_e32 v[14:15], v[10:11]
	s_mov_b32 s0, exec_lo
	s_wait_dscnt 0x0
	s_barrier_signal -1
	s_barrier_wait -1
	v_cmpx_gt_u32_e32 13, v0
; %bb.16:
	v_mad_u32_u24 v14, v0, 48, v1
	ds_load_b128 v[14:17], v14
; %bb.17:
	s_or_b32 exec_lo, exec_lo, s0
	s_branch .LBB105_26
.LBB105_18:
                                        ; implicit-def: $vgpr16_vgpr17
	s_cbranch_execz .LBB105_26
; %bb.19:
	s_mov_b32 s0, exec_lo
	v_cmpx_gt_u32_e32 26, v0
	s_cbranch_execz .LBB105_21
; %bb.20:
	s_wait_dscnt 0x0
	ds_load_b128 v[14:17], v1 offset:416
	ds_load_b128 v[18:21], v1
	s_wait_dscnt 0x0
	v_add_f64_e32 v[14:15], v[14:15], v[18:19]
	v_add_f64_e32 v[16:17], v[16:17], v[20:21]
	ds_store_b128 v1, v[14:17]
.LBB105_21:
	s_or_b32 exec_lo, exec_lo, s0
	s_delay_alu instid0(SALU_CYCLE_1)
	s_mov_b32 s0, exec_lo
	s_wait_dscnt 0x0
	v_cmpx_lt_u32_e32 12, v0
	s_xor_b32 s0, exec_lo, s0
; %bb.22:
                                        ; implicit-def: $vgpr1
; %bb.23:
	s_delay_alu instid0(SALU_CYCLE_1)
	s_and_not1_saveexec_b32 s0, s0
	s_cbranch_execz .LBB105_25
; %bb.24:
	ds_load_b128 v[10:13], v1 offset:208
	ds_load_b128 v[14:17], v1
	s_wait_dscnt 0x0
	v_add_f64_e32 v[10:11], v[10:11], v[14:15]
	v_add_f64_e32 v[12:13], v[12:13], v[16:17]
	ds_store_b128 v1, v[10:13]
	s_wait_dscnt 0x0
	ds_load_b128 v[10:13], v1
.LBB105_25:
	s_or_b32 exec_lo, exec_lo, s0
	s_wait_dscnt 0x0
	v_mov_b64_e32 v[16:17], v[12:13]
	v_mov_b64_e32 v[14:15], v[10:11]
.LBB105_26:
	v_cmp_gt_u32_e32 vcc_lo, 13, v0
	s_and_b32 exec_lo, exec_lo, vcc_lo
	s_cbranch_execz .LBB105_31
; %bb.27:
	s_wait_dscnt 0x0
	s_delay_alu instid0(VALU_DEP_3)
	v_mul_f64_e64 v[10:11], v[16:17], -v[8:9]
	v_mul_f64_e32 v[12:13], v[6:7], v[16:17]
	v_cmp_eq_f64_e32 vcc_lo, 0, v[2:3]
	v_cmp_eq_f64_e64 s0, 0, v[4:5]
	v_mad_u32 v0, s8, 13, v0
	v_fmac_f64_e32 v[10:11], v[6:7], v[14:15]
	v_fmac_f64_e32 v[12:13], v[8:9], v[14:15]
	s_and_b32 s0, vcc_lo, s0
	s_delay_alu instid0(SALU_CYCLE_1) | instskip(NEXT) | instid1(SALU_CYCLE_1)
	s_and_saveexec_b32 s1, s0
	s_xor_b32 s0, exec_lo, s1
	s_cbranch_execz .LBB105_29
; %bb.28:
	global_store_b128 v0, v[10:13], s[2:3] scale_offset
                                        ; implicit-def: $vgpr0
                                        ; implicit-def: $vgpr2_vgpr3
                                        ; implicit-def: $vgpr10_vgpr11
.LBB105_29:
	s_wait_xcnt 0x0
	s_and_not1_saveexec_b32 s0, s0
	s_cbranch_execz .LBB105_31
; %bb.30:
	global_load_b128 v[6:9], v0, s[2:3] scale_offset
	s_wait_loadcnt 0x0
	v_fmac_f64_e32 v[10:11], v[2:3], v[6:7]
	v_fmac_f64_e32 v[12:13], v[4:5], v[6:7]
	s_delay_alu instid0(VALU_DEP_2) | instskip(NEXT) | instid1(VALU_DEP_2)
	v_fma_f64 v[10:11], -v[4:5], v[8:9], v[10:11]
	v_fmac_f64_e32 v[12:13], v[2:3], v[8:9]
	global_store_b128 v0, v[10:13], s[2:3] scale_offset
.LBB105_31:
	s_endpgm
	.section	.rodata,"a",@progbits
	.p2align	6, 0x0
	.amdhsa_kernel _ZN9rocsparseL22gebsrmvn_mxn_16_kernelILj52ELj13ELj4E21rocsparse_complex_numIdEEEvi20rocsparse_direction_NS_24const_host_device_scalarIT2_EEPKiS8_PKS5_iiSA_S6_PS5_21rocsparse_index_base_b
		.amdhsa_group_segment_fixed_size 832
		.amdhsa_private_segment_fixed_size 0
		.amdhsa_kernarg_size 96
		.amdhsa_user_sgpr_count 2
		.amdhsa_user_sgpr_dispatch_ptr 0
		.amdhsa_user_sgpr_queue_ptr 0
		.amdhsa_user_sgpr_kernarg_segment_ptr 1
		.amdhsa_user_sgpr_dispatch_id 0
		.amdhsa_user_sgpr_kernarg_preload_length 0
		.amdhsa_user_sgpr_kernarg_preload_offset 0
		.amdhsa_user_sgpr_private_segment_size 0
		.amdhsa_wavefront_size32 1
		.amdhsa_uses_dynamic_stack 0
		.amdhsa_enable_private_segment 0
		.amdhsa_system_sgpr_workgroup_id_x 1
		.amdhsa_system_sgpr_workgroup_id_y 0
		.amdhsa_system_sgpr_workgroup_id_z 0
		.amdhsa_system_sgpr_workgroup_info 0
		.amdhsa_system_vgpr_workitem_id 0
		.amdhsa_next_free_vgpr 26
		.amdhsa_next_free_sgpr 16
		.amdhsa_named_barrier_count 0
		.amdhsa_reserve_vcc 1
		.amdhsa_float_round_mode_32 0
		.amdhsa_float_round_mode_16_64 0
		.amdhsa_float_denorm_mode_32 3
		.amdhsa_float_denorm_mode_16_64 3
		.amdhsa_fp16_overflow 0
		.amdhsa_memory_ordered 1
		.amdhsa_forward_progress 1
		.amdhsa_inst_pref_size 9
		.amdhsa_round_robin_scheduling 0
		.amdhsa_exception_fp_ieee_invalid_op 0
		.amdhsa_exception_fp_denorm_src 0
		.amdhsa_exception_fp_ieee_div_zero 0
		.amdhsa_exception_fp_ieee_overflow 0
		.amdhsa_exception_fp_ieee_underflow 0
		.amdhsa_exception_fp_ieee_inexact 0
		.amdhsa_exception_int_div_zero 0
	.end_amdhsa_kernel
	.section	.text._ZN9rocsparseL22gebsrmvn_mxn_16_kernelILj52ELj13ELj4E21rocsparse_complex_numIdEEEvi20rocsparse_direction_NS_24const_host_device_scalarIT2_EEPKiS8_PKS5_iiSA_S6_PS5_21rocsparse_index_base_b,"axG",@progbits,_ZN9rocsparseL22gebsrmvn_mxn_16_kernelILj52ELj13ELj4E21rocsparse_complex_numIdEEEvi20rocsparse_direction_NS_24const_host_device_scalarIT2_EEPKiS8_PKS5_iiSA_S6_PS5_21rocsparse_index_base_b,comdat
.Lfunc_end105:
	.size	_ZN9rocsparseL22gebsrmvn_mxn_16_kernelILj52ELj13ELj4E21rocsparse_complex_numIdEEEvi20rocsparse_direction_NS_24const_host_device_scalarIT2_EEPKiS8_PKS5_iiSA_S6_PS5_21rocsparse_index_base_b, .Lfunc_end105-_ZN9rocsparseL22gebsrmvn_mxn_16_kernelILj52ELj13ELj4E21rocsparse_complex_numIdEEEvi20rocsparse_direction_NS_24const_host_device_scalarIT2_EEPKiS8_PKS5_iiSA_S6_PS5_21rocsparse_index_base_b
                                        ; -- End function
	.set _ZN9rocsparseL22gebsrmvn_mxn_16_kernelILj52ELj13ELj4E21rocsparse_complex_numIdEEEvi20rocsparse_direction_NS_24const_host_device_scalarIT2_EEPKiS8_PKS5_iiSA_S6_PS5_21rocsparse_index_base_b.num_vgpr, 26
	.set _ZN9rocsparseL22gebsrmvn_mxn_16_kernelILj52ELj13ELj4E21rocsparse_complex_numIdEEEvi20rocsparse_direction_NS_24const_host_device_scalarIT2_EEPKiS8_PKS5_iiSA_S6_PS5_21rocsparse_index_base_b.num_agpr, 0
	.set _ZN9rocsparseL22gebsrmvn_mxn_16_kernelILj52ELj13ELj4E21rocsparse_complex_numIdEEEvi20rocsparse_direction_NS_24const_host_device_scalarIT2_EEPKiS8_PKS5_iiSA_S6_PS5_21rocsparse_index_base_b.numbered_sgpr, 16
	.set _ZN9rocsparseL22gebsrmvn_mxn_16_kernelILj52ELj13ELj4E21rocsparse_complex_numIdEEEvi20rocsparse_direction_NS_24const_host_device_scalarIT2_EEPKiS8_PKS5_iiSA_S6_PS5_21rocsparse_index_base_b.num_named_barrier, 0
	.set _ZN9rocsparseL22gebsrmvn_mxn_16_kernelILj52ELj13ELj4E21rocsparse_complex_numIdEEEvi20rocsparse_direction_NS_24const_host_device_scalarIT2_EEPKiS8_PKS5_iiSA_S6_PS5_21rocsparse_index_base_b.private_seg_size, 0
	.set _ZN9rocsparseL22gebsrmvn_mxn_16_kernelILj52ELj13ELj4E21rocsparse_complex_numIdEEEvi20rocsparse_direction_NS_24const_host_device_scalarIT2_EEPKiS8_PKS5_iiSA_S6_PS5_21rocsparse_index_base_b.uses_vcc, 1
	.set _ZN9rocsparseL22gebsrmvn_mxn_16_kernelILj52ELj13ELj4E21rocsparse_complex_numIdEEEvi20rocsparse_direction_NS_24const_host_device_scalarIT2_EEPKiS8_PKS5_iiSA_S6_PS5_21rocsparse_index_base_b.uses_flat_scratch, 0
	.set _ZN9rocsparseL22gebsrmvn_mxn_16_kernelILj52ELj13ELj4E21rocsparse_complex_numIdEEEvi20rocsparse_direction_NS_24const_host_device_scalarIT2_EEPKiS8_PKS5_iiSA_S6_PS5_21rocsparse_index_base_b.has_dyn_sized_stack, 0
	.set _ZN9rocsparseL22gebsrmvn_mxn_16_kernelILj52ELj13ELj4E21rocsparse_complex_numIdEEEvi20rocsparse_direction_NS_24const_host_device_scalarIT2_EEPKiS8_PKS5_iiSA_S6_PS5_21rocsparse_index_base_b.has_recursion, 0
	.set _ZN9rocsparseL22gebsrmvn_mxn_16_kernelILj52ELj13ELj4E21rocsparse_complex_numIdEEEvi20rocsparse_direction_NS_24const_host_device_scalarIT2_EEPKiS8_PKS5_iiSA_S6_PS5_21rocsparse_index_base_b.has_indirect_call, 0
	.section	.AMDGPU.csdata,"",@progbits
; Kernel info:
; codeLenInByte = 1072
; TotalNumSgprs: 18
; NumVgprs: 26
; ScratchSize: 0
; MemoryBound: 0
; FloatMode: 240
; IeeeMode: 1
; LDSByteSize: 832 bytes/workgroup (compile time only)
; SGPRBlocks: 0
; VGPRBlocks: 1
; NumSGPRsForWavesPerEU: 18
; NumVGPRsForWavesPerEU: 26
; NamedBarCnt: 0
; Occupancy: 16
; WaveLimiterHint : 1
; COMPUTE_PGM_RSRC2:SCRATCH_EN: 0
; COMPUTE_PGM_RSRC2:USER_SGPR: 2
; COMPUTE_PGM_RSRC2:TRAP_HANDLER: 0
; COMPUTE_PGM_RSRC2:TGID_X_EN: 1
; COMPUTE_PGM_RSRC2:TGID_Y_EN: 0
; COMPUTE_PGM_RSRC2:TGID_Z_EN: 0
; COMPUTE_PGM_RSRC2:TIDIG_COMP_CNT: 0
	.section	.text._ZN9rocsparseL22gebsrmvn_mxn_16_kernelILj65ELj13ELj5E21rocsparse_complex_numIdEEEvi20rocsparse_direction_NS_24const_host_device_scalarIT2_EEPKiS8_PKS5_iiSA_S6_PS5_21rocsparse_index_base_b,"axG",@progbits,_ZN9rocsparseL22gebsrmvn_mxn_16_kernelILj65ELj13ELj5E21rocsparse_complex_numIdEEEvi20rocsparse_direction_NS_24const_host_device_scalarIT2_EEPKiS8_PKS5_iiSA_S6_PS5_21rocsparse_index_base_b,comdat
	.globl	_ZN9rocsparseL22gebsrmvn_mxn_16_kernelILj65ELj13ELj5E21rocsparse_complex_numIdEEEvi20rocsparse_direction_NS_24const_host_device_scalarIT2_EEPKiS8_PKS5_iiSA_S6_PS5_21rocsparse_index_base_b ; -- Begin function _ZN9rocsparseL22gebsrmvn_mxn_16_kernelILj65ELj13ELj5E21rocsparse_complex_numIdEEEvi20rocsparse_direction_NS_24const_host_device_scalarIT2_EEPKiS8_PKS5_iiSA_S6_PS5_21rocsparse_index_base_b
	.p2align	8
	.type	_ZN9rocsparseL22gebsrmvn_mxn_16_kernelILj65ELj13ELj5E21rocsparse_complex_numIdEEEvi20rocsparse_direction_NS_24const_host_device_scalarIT2_EEPKiS8_PKS5_iiSA_S6_PS5_21rocsparse_index_base_b,@function
_ZN9rocsparseL22gebsrmvn_mxn_16_kernelILj65ELj13ELj5E21rocsparse_complex_numIdEEEvi20rocsparse_direction_NS_24const_host_device_scalarIT2_EEPKiS8_PKS5_iiSA_S6_PS5_21rocsparse_index_base_b: ; @_ZN9rocsparseL22gebsrmvn_mxn_16_kernelILj65ELj13ELj5E21rocsparse_complex_numIdEEEvi20rocsparse_direction_NS_24const_host_device_scalarIT2_EEPKiS8_PKS5_iiSA_S6_PS5_21rocsparse_index_base_b
; %bb.0:
	s_clause 0x1
	s_load_b64 s[10:11], s[0:1], 0x58
	s_load_b64 s[2:3], s[0:1], 0x8
	v_mov_b32_e32 v1, 0
	s_add_nc_u64 s[4:5], s[0:1], 8
	s_load_b64 s[6:7], s[0:1], 0x40
	s_wait_kmcnt 0x0
	s_bitcmp1_b32 s11, 0
	s_cselect_b32 s3, s5, s3
	s_cselect_b32 s2, s4, s2
	flat_load_b128 v[6:9], v1, s[2:3]
	s_wait_xcnt 0x0
	s_add_nc_u64 s[2:3], s[0:1], 64
	s_delay_alu instid0(SALU_CYCLE_1)
	s_cselect_b32 s3, s3, s7
	s_cselect_b32 s2, s2, s6
	flat_load_b128 v[2:5], v1, s[2:3]
	s_wait_loadcnt_dscnt 0x101
	v_cmp_eq_f64_e32 vcc_lo, 0, v[6:7]
	s_wait_xcnt 0x0
	v_cmp_eq_f64_e64 s2, 0, v[8:9]
	s_and_b32 s4, vcc_lo, s2
	s_mov_b32 s2, -1
	s_and_saveexec_b32 s3, s4
	s_cbranch_execz .LBB106_2
; %bb.1:
	s_wait_loadcnt_dscnt 0x0
	v_cmp_neq_f64_e32 vcc_lo, 1.0, v[2:3]
	v_cmp_neq_f64_e64 s2, 0, v[4:5]
	s_or_b32 s2, vcc_lo, s2
	s_delay_alu instid0(SALU_CYCLE_1)
	s_or_not1_b32 s2, s2, exec_lo
.LBB106_2:
	s_or_b32 exec_lo, exec_lo, s3
	s_and_saveexec_b32 s3, s2
	s_cbranch_execz .LBB106_35
; %bb.3:
	v_mul_u32_u24_e32 v1, 0x3334, v0
	s_clause 0x1
	s_load_b32 s4, s[0:1], 0x4
	s_load_b64 s[2:3], s[0:1], 0x18
	v_and_b32_e32 v15, 0xffff, v0
	v_lshrrev_b32_e32 v1, 16, v1
	s_delay_alu instid0(VALU_DEP_1) | instskip(NEXT) | instid1(VALU_DEP_1)
	v_mul_lo_u16 v1, v1, 5
	v_sub_nc_u16 v1, v0, v1
	s_delay_alu instid0(VALU_DEP_1) | instskip(SKIP_3) | instid1(SALU_CYCLE_1)
	v_and_b32_e32 v14, 0xffff, v1
	s_wait_kmcnt 0x0
	s_cmp_lg_u32 s4, 1
	s_cselect_b32 s11, -1, 0
	s_and_b32 vcc_lo, exec_lo, s11
	v_mov_b32_e32 v1, v14
	s_cbranch_vccnz .LBB106_5
; %bb.4:
	v_mul_u32_u24_e32 v1, 0x13b2, v15
	s_delay_alu instid0(VALU_DEP_1) | instskip(NEXT) | instid1(VALU_DEP_1)
	v_lshrrev_b32_e32 v1, 16, v1
	v_mul_lo_u16 v10, v1, 52
	s_delay_alu instid0(VALU_DEP_1) | instskip(NEXT) | instid1(VALU_DEP_1)
	v_lshrrev_b16 v10, 8, v10
	v_mul_lo_u16 v10, v10, 5
	s_delay_alu instid0(VALU_DEP_1) | instskip(NEXT) | instid1(VALU_DEP_1)
	v_sub_nc_u16 v1, v1, v10
	v_and_b32_e32 v1, 0xff, v1
.LBB106_5:
	s_bfe_u32 s4, ttmp6, 0x4000c
	s_and_b32 s5, ttmp6, 15
	s_add_co_i32 s4, s4, 1
	s_getreg_b32 s6, hwreg(HW_REG_IB_STS2, 6, 4)
	s_mul_i32 s4, ttmp9, s4
	v_mov_b64_e32 v[12:13], 0
	s_add_co_i32 s5, s5, s4
	s_cmp_eq_u32 s6, 0
	v_mov_b64_e32 v[10:11], 0
	s_cselect_b32 s8, ttmp9, s5
	s_delay_alu instid0(SALU_CYCLE_1) | instskip(NEXT) | instid1(SALU_CYCLE_1)
	s_ashr_i32 s9, s8, 31
	s_lshl_b64 s[4:5], s[8:9], 2
	s_delay_alu instid0(SALU_CYCLE_1)
	s_add_nc_u64 s[4:5], s[2:3], s[4:5]
	s_load_b64 s[14:15], s[4:5], 0x0
	s_load_b64 s[2:3], s[0:1], 0x50
	s_wait_kmcnt 0x0
	s_cmp_ge_i32 s14, s15
	s_cbranch_scc1 .LBB106_10
; %bb.6:
	s_clause 0x1
	s_load_b128 s[4:7], s[0:1], 0x20
	s_load_b64 s[12:13], s[0:1], 0x38
	v_mad_u32 v10, 0x41, s14, v0
	v_mov_b64_e32 v[12:13], 0
	v_mul_u32_u24_e32 v11, 0x3f1, v15
	s_wait_xcnt 0x0
	s_mul_i32 s0, s10, 0x41
	s_sub_co_i32 s1, s14, s10
	s_delay_alu instid0(VALU_DEP_1) | instskip(NEXT) | instid1(VALU_DEP_4)
	v_lshrrev_b32_e32 v15, 16, v11
	v_subrev_nc_u32_e32 v16, s0, v10
	v_mov_b64_e32 v[10:11], v[12:13]
	s_sub_co_i32 s0, s15, s10
	s_branch .LBB106_8
.LBB106_7:                              ;   in Loop: Header=BB106_8 Depth=1
	s_or_b32 exec_lo, exec_lo, s9
	v_add_nc_u32_e32 v16, 0x41, v16
	s_add_co_i32 s1, s1, 1
	s_delay_alu instid0(SALU_CYCLE_1)
	s_cmp_ge_i32 s1, s0
	s_cbranch_scc1 .LBB106_10
.LBB106_8:                              ; =>This Inner Loop Header: Depth=1
	v_add_nc_u32_e32 v17, s1, v15
	s_mov_b32 s9, exec_lo
	s_delay_alu instid0(VALU_DEP_1)
	v_cmpx_gt_i32_e64 s0, v17
	s_cbranch_execz .LBB106_7
; %bb.9:                                ;   in Loop: Header=BB106_8 Depth=1
	s_wait_kmcnt 0x0
	global_load_b32 v17, v17, s[4:5] scale_offset
	s_wait_loadcnt 0x0
	v_subrev_nc_u32_e32 v17, s10, v17
	s_delay_alu instid0(VALU_DEP_1)
	v_mad_u32 v17, v17, 5, v1
	global_load_b128 v[18:21], v16, s[6:7] scale_offset
	global_load_b128 v[22:25], v17, s[12:13] scale_offset
	s_wait_loadcnt 0x0
	v_fmac_f64_e32 v[10:11], v[18:19], v[22:23]
	v_fmac_f64_e32 v[12:13], v[20:21], v[22:23]
	s_delay_alu instid0(VALU_DEP_2) | instskip(NEXT) | instid1(VALU_DEP_2)
	v_fma_f64 v[10:11], -v[20:21], v[24:25], v[10:11]
	v_fmac_f64_e32 v[12:13], v[18:19], v[24:25]
	s_branch .LBB106_7
.LBB106_10:
	v_lshlrev_b32_e32 v1, 4, v0
	s_and_b32 vcc_lo, exec_lo, s11
	ds_store_b128 v1, v[10:13]
	s_wait_loadcnt_dscnt 0x0
	s_barrier_signal -1
	s_barrier_wait -1
	s_cbranch_vccz .LBB106_20
; %bb.11:
	v_cmp_eq_u16_e32 vcc_lo, 0, v14
	s_and_saveexec_b32 s0, vcc_lo
	s_cbranch_execz .LBB106_13
; %bb.12:
	ds_load_b128 v[16:19], v1 offset:64
	ds_load_b128 v[20:23], v1
	s_wait_dscnt 0x0
	v_add_f64_e32 v[16:17], v[16:17], v[20:21]
	v_add_f64_e32 v[18:19], v[18:19], v[22:23]
	ds_store_b128 v1, v[16:19]
.LBB106_13:
	s_or_b32 exec_lo, exec_lo, s0
	s_delay_alu instid0(SALU_CYCLE_1)
	s_mov_b32 s1, exec_lo
	s_wait_dscnt 0x0
	s_barrier_signal -1
	s_barrier_wait -1
	v_cmpx_gt_u16_e32 2, v14
	s_cbranch_execz .LBB106_15
; %bb.14:
	ds_load_b128 v[14:17], v1
	ds_load_b128 v[18:21], v1 offset:32
	s_wait_dscnt 0x0
	v_add_f64_e32 v[14:15], v[18:19], v[14:15]
	v_add_f64_e32 v[16:17], v[20:21], v[16:17]
	ds_store_b128 v1, v[14:17]
.LBB106_15:
	s_or_b32 exec_lo, exec_lo, s1
	s_wait_dscnt 0x0
	s_barrier_signal -1
	s_barrier_wait -1
	s_and_saveexec_b32 s0, vcc_lo
	s_cbranch_execz .LBB106_17
; %bb.16:
	ds_load_b128 v[14:17], v1
	ds_load_b128 v[18:21], v1 offset:16
	s_wait_dscnt 0x0
	v_add_f64_e32 v[14:15], v[18:19], v[14:15]
	v_add_f64_e32 v[16:17], v[20:21], v[16:17]
	ds_store_b128 v1, v[14:17]
.LBB106_17:
	s_or_b32 exec_lo, exec_lo, s0
	v_mov_b64_e32 v[16:17], v[12:13]
	v_mov_b64_e32 v[14:15], v[10:11]
	s_mov_b32 s0, exec_lo
	s_wait_dscnt 0x0
	s_barrier_signal -1
	s_barrier_wait -1
	v_cmpx_gt_u32_e32 13, v0
; %bb.18:
	v_lshl_add_u32 v14, v0, 6, v1
	ds_load_b128 v[14:17], v14
; %bb.19:
	s_or_b32 exec_lo, exec_lo, s0
	v_cmp_gt_u32_e64 s0, 13, v0
	s_branch .LBB106_30
.LBB106_20:
                                        ; implicit-def: $vgpr16_vgpr17
	v_cmp_gt_u32_e64 s0, 13, v0
	s_cbranch_execz .LBB106_30
; %bb.21:
	v_cmp_lt_u32_e32 vcc_lo, 12, v0
	s_and_saveexec_b32 s1, s0
	s_cbranch_execz .LBB106_23
; %bb.22:
	s_wait_dscnt 0x0
	ds_load_b128 v[14:17], v1 offset:832
	ds_load_b128 v[18:21], v1
	s_wait_dscnt 0x0
	v_add_f64_e32 v[14:15], v[14:15], v[18:19]
	v_add_f64_e32 v[16:17], v[16:17], v[20:21]
	ds_store_b128 v1, v[14:17]
.LBB106_23:
	s_or_b32 exec_lo, exec_lo, s1
	s_delay_alu instid0(SALU_CYCLE_1)
	s_mov_b32 s1, exec_lo
	s_wait_dscnt 0x0
	s_barrier_signal -1
	s_barrier_wait -1
	v_cmpx_gt_u32_e32 26, v0
	s_cbranch_execz .LBB106_25
; %bb.24:
	ds_load_b128 v[14:17], v1 offset:416
	ds_load_b128 v[18:21], v1
	s_wait_dscnt 0x0
	v_add_f64_e32 v[14:15], v[14:15], v[18:19]
	v_add_f64_e32 v[16:17], v[16:17], v[20:21]
	ds_store_b128 v1, v[14:17]
.LBB106_25:
	s_or_b32 exec_lo, exec_lo, s1
	s_wait_dscnt 0x0
	s_and_saveexec_b32 s0, vcc_lo
	s_delay_alu instid0(SALU_CYCLE_1)
	s_xor_b32 s0, exec_lo, s0
; %bb.26:
                                        ; implicit-def: $vgpr1
; %bb.27:
	s_delay_alu instid0(SALU_CYCLE_1)
	s_and_not1_saveexec_b32 s0, s0
	s_cbranch_execz .LBB106_29
; %bb.28:
	ds_load_b128 v[10:13], v1 offset:208
	ds_load_b128 v[14:17], v1
	s_wait_dscnt 0x0
	v_add_f64_e32 v[10:11], v[10:11], v[14:15]
	v_add_f64_e32 v[12:13], v[12:13], v[16:17]
	ds_store_b128 v1, v[10:13]
	s_wait_dscnt 0x0
	ds_load_b128 v[10:13], v1
.LBB106_29:
	s_or_b32 exec_lo, exec_lo, s0
	s_wait_dscnt 0x0
	v_mov_b64_e32 v[16:17], v[12:13]
	v_mov_b64_e32 v[14:15], v[10:11]
.LBB106_30:
	v_cmp_gt_u32_e32 vcc_lo, 13, v0
	s_and_b32 exec_lo, exec_lo, vcc_lo
	s_cbranch_execz .LBB106_35
; %bb.31:
	s_wait_dscnt 0x0
	s_delay_alu instid0(VALU_DEP_3)
	v_mul_f64_e64 v[10:11], v[16:17], -v[8:9]
	v_mul_f64_e32 v[12:13], v[6:7], v[16:17]
	v_cmp_eq_f64_e32 vcc_lo, 0, v[2:3]
	v_cmp_eq_f64_e64 s0, 0, v[4:5]
	v_mad_u32 v0, s8, 13, v0
	v_fmac_f64_e32 v[10:11], v[6:7], v[14:15]
	v_fmac_f64_e32 v[12:13], v[8:9], v[14:15]
	s_and_b32 s0, vcc_lo, s0
	s_delay_alu instid0(SALU_CYCLE_1) | instskip(NEXT) | instid1(SALU_CYCLE_1)
	s_and_saveexec_b32 s1, s0
	s_xor_b32 s0, exec_lo, s1
	s_cbranch_execz .LBB106_33
; %bb.32:
	global_store_b128 v0, v[10:13], s[2:3] scale_offset
                                        ; implicit-def: $vgpr0
                                        ; implicit-def: $vgpr2_vgpr3
                                        ; implicit-def: $vgpr10_vgpr11
.LBB106_33:
	s_wait_xcnt 0x0
	s_and_not1_saveexec_b32 s0, s0
	s_cbranch_execz .LBB106_35
; %bb.34:
	global_load_b128 v[6:9], v0, s[2:3] scale_offset
	s_wait_loadcnt 0x0
	v_fmac_f64_e32 v[10:11], v[2:3], v[6:7]
	v_fmac_f64_e32 v[12:13], v[4:5], v[6:7]
	s_delay_alu instid0(VALU_DEP_2) | instskip(NEXT) | instid1(VALU_DEP_2)
	v_fma_f64 v[10:11], -v[4:5], v[8:9], v[10:11]
	v_fmac_f64_e32 v[12:13], v[2:3], v[8:9]
	global_store_b128 v0, v[10:13], s[2:3] scale_offset
.LBB106_35:
	s_endpgm
	.section	.rodata,"a",@progbits
	.p2align	6, 0x0
	.amdhsa_kernel _ZN9rocsparseL22gebsrmvn_mxn_16_kernelILj65ELj13ELj5E21rocsparse_complex_numIdEEEvi20rocsparse_direction_NS_24const_host_device_scalarIT2_EEPKiS8_PKS5_iiSA_S6_PS5_21rocsparse_index_base_b
		.amdhsa_group_segment_fixed_size 1040
		.amdhsa_private_segment_fixed_size 0
		.amdhsa_kernarg_size 96
		.amdhsa_user_sgpr_count 2
		.amdhsa_user_sgpr_dispatch_ptr 0
		.amdhsa_user_sgpr_queue_ptr 0
		.amdhsa_user_sgpr_kernarg_segment_ptr 1
		.amdhsa_user_sgpr_dispatch_id 0
		.amdhsa_user_sgpr_kernarg_preload_length 0
		.amdhsa_user_sgpr_kernarg_preload_offset 0
		.amdhsa_user_sgpr_private_segment_size 0
		.amdhsa_wavefront_size32 1
		.amdhsa_uses_dynamic_stack 0
		.amdhsa_enable_private_segment 0
		.amdhsa_system_sgpr_workgroup_id_x 1
		.amdhsa_system_sgpr_workgroup_id_y 0
		.amdhsa_system_sgpr_workgroup_id_z 0
		.amdhsa_system_sgpr_workgroup_info 0
		.amdhsa_system_vgpr_workitem_id 0
		.amdhsa_next_free_vgpr 26
		.amdhsa_next_free_sgpr 16
		.amdhsa_named_barrier_count 0
		.amdhsa_reserve_vcc 1
		.amdhsa_float_round_mode_32 0
		.amdhsa_float_round_mode_16_64 0
		.amdhsa_float_denorm_mode_32 3
		.amdhsa_float_denorm_mode_16_64 3
		.amdhsa_fp16_overflow 0
		.amdhsa_memory_ordered 1
		.amdhsa_forward_progress 1
		.amdhsa_inst_pref_size 11
		.amdhsa_round_robin_scheduling 0
		.amdhsa_exception_fp_ieee_invalid_op 0
		.amdhsa_exception_fp_denorm_src 0
		.amdhsa_exception_fp_ieee_div_zero 0
		.amdhsa_exception_fp_ieee_overflow 0
		.amdhsa_exception_fp_ieee_underflow 0
		.amdhsa_exception_fp_ieee_inexact 0
		.amdhsa_exception_int_div_zero 0
	.end_amdhsa_kernel
	.section	.text._ZN9rocsparseL22gebsrmvn_mxn_16_kernelILj65ELj13ELj5E21rocsparse_complex_numIdEEEvi20rocsparse_direction_NS_24const_host_device_scalarIT2_EEPKiS8_PKS5_iiSA_S6_PS5_21rocsparse_index_base_b,"axG",@progbits,_ZN9rocsparseL22gebsrmvn_mxn_16_kernelILj65ELj13ELj5E21rocsparse_complex_numIdEEEvi20rocsparse_direction_NS_24const_host_device_scalarIT2_EEPKiS8_PKS5_iiSA_S6_PS5_21rocsparse_index_base_b,comdat
.Lfunc_end106:
	.size	_ZN9rocsparseL22gebsrmvn_mxn_16_kernelILj65ELj13ELj5E21rocsparse_complex_numIdEEEvi20rocsparse_direction_NS_24const_host_device_scalarIT2_EEPKiS8_PKS5_iiSA_S6_PS5_21rocsparse_index_base_b, .Lfunc_end106-_ZN9rocsparseL22gebsrmvn_mxn_16_kernelILj65ELj13ELj5E21rocsparse_complex_numIdEEEvi20rocsparse_direction_NS_24const_host_device_scalarIT2_EEPKiS8_PKS5_iiSA_S6_PS5_21rocsparse_index_base_b
                                        ; -- End function
	.set _ZN9rocsparseL22gebsrmvn_mxn_16_kernelILj65ELj13ELj5E21rocsparse_complex_numIdEEEvi20rocsparse_direction_NS_24const_host_device_scalarIT2_EEPKiS8_PKS5_iiSA_S6_PS5_21rocsparse_index_base_b.num_vgpr, 26
	.set _ZN9rocsparseL22gebsrmvn_mxn_16_kernelILj65ELj13ELj5E21rocsparse_complex_numIdEEEvi20rocsparse_direction_NS_24const_host_device_scalarIT2_EEPKiS8_PKS5_iiSA_S6_PS5_21rocsparse_index_base_b.num_agpr, 0
	.set _ZN9rocsparseL22gebsrmvn_mxn_16_kernelILj65ELj13ELj5E21rocsparse_complex_numIdEEEvi20rocsparse_direction_NS_24const_host_device_scalarIT2_EEPKiS8_PKS5_iiSA_S6_PS5_21rocsparse_index_base_b.numbered_sgpr, 16
	.set _ZN9rocsparseL22gebsrmvn_mxn_16_kernelILj65ELj13ELj5E21rocsparse_complex_numIdEEEvi20rocsparse_direction_NS_24const_host_device_scalarIT2_EEPKiS8_PKS5_iiSA_S6_PS5_21rocsparse_index_base_b.num_named_barrier, 0
	.set _ZN9rocsparseL22gebsrmvn_mxn_16_kernelILj65ELj13ELj5E21rocsparse_complex_numIdEEEvi20rocsparse_direction_NS_24const_host_device_scalarIT2_EEPKiS8_PKS5_iiSA_S6_PS5_21rocsparse_index_base_b.private_seg_size, 0
	.set _ZN9rocsparseL22gebsrmvn_mxn_16_kernelILj65ELj13ELj5E21rocsparse_complex_numIdEEEvi20rocsparse_direction_NS_24const_host_device_scalarIT2_EEPKiS8_PKS5_iiSA_S6_PS5_21rocsparse_index_base_b.uses_vcc, 1
	.set _ZN9rocsparseL22gebsrmvn_mxn_16_kernelILj65ELj13ELj5E21rocsparse_complex_numIdEEEvi20rocsparse_direction_NS_24const_host_device_scalarIT2_EEPKiS8_PKS5_iiSA_S6_PS5_21rocsparse_index_base_b.uses_flat_scratch, 0
	.set _ZN9rocsparseL22gebsrmvn_mxn_16_kernelILj65ELj13ELj5E21rocsparse_complex_numIdEEEvi20rocsparse_direction_NS_24const_host_device_scalarIT2_EEPKiS8_PKS5_iiSA_S6_PS5_21rocsparse_index_base_b.has_dyn_sized_stack, 0
	.set _ZN9rocsparseL22gebsrmvn_mxn_16_kernelILj65ELj13ELj5E21rocsparse_complex_numIdEEEvi20rocsparse_direction_NS_24const_host_device_scalarIT2_EEPKiS8_PKS5_iiSA_S6_PS5_21rocsparse_index_base_b.has_recursion, 0
	.set _ZN9rocsparseL22gebsrmvn_mxn_16_kernelILj65ELj13ELj5E21rocsparse_complex_numIdEEEvi20rocsparse_direction_NS_24const_host_device_scalarIT2_EEPKiS8_PKS5_iiSA_S6_PS5_21rocsparse_index_base_b.has_indirect_call, 0
	.section	.AMDGPU.csdata,"",@progbits
; Kernel info:
; codeLenInByte = 1312
; TotalNumSgprs: 18
; NumVgprs: 26
; ScratchSize: 0
; MemoryBound: 0
; FloatMode: 240
; IeeeMode: 1
; LDSByteSize: 1040 bytes/workgroup (compile time only)
; SGPRBlocks: 0
; VGPRBlocks: 1
; NumSGPRsForWavesPerEU: 18
; NumVGPRsForWavesPerEU: 26
; NamedBarCnt: 0
; Occupancy: 16
; WaveLimiterHint : 1
; COMPUTE_PGM_RSRC2:SCRATCH_EN: 0
; COMPUTE_PGM_RSRC2:USER_SGPR: 2
; COMPUTE_PGM_RSRC2:TRAP_HANDLER: 0
; COMPUTE_PGM_RSRC2:TGID_X_EN: 1
; COMPUTE_PGM_RSRC2:TGID_Y_EN: 0
; COMPUTE_PGM_RSRC2:TGID_Z_EN: 0
; COMPUTE_PGM_RSRC2:TIDIG_COMP_CNT: 0
	.section	.text._ZN9rocsparseL22gebsrmvn_mxn_16_kernelILj78ELj13ELj6E21rocsparse_complex_numIdEEEvi20rocsparse_direction_NS_24const_host_device_scalarIT2_EEPKiS8_PKS5_iiSA_S6_PS5_21rocsparse_index_base_b,"axG",@progbits,_ZN9rocsparseL22gebsrmvn_mxn_16_kernelILj78ELj13ELj6E21rocsparse_complex_numIdEEEvi20rocsparse_direction_NS_24const_host_device_scalarIT2_EEPKiS8_PKS5_iiSA_S6_PS5_21rocsparse_index_base_b,comdat
	.globl	_ZN9rocsparseL22gebsrmvn_mxn_16_kernelILj78ELj13ELj6E21rocsparse_complex_numIdEEEvi20rocsparse_direction_NS_24const_host_device_scalarIT2_EEPKiS8_PKS5_iiSA_S6_PS5_21rocsparse_index_base_b ; -- Begin function _ZN9rocsparseL22gebsrmvn_mxn_16_kernelILj78ELj13ELj6E21rocsparse_complex_numIdEEEvi20rocsparse_direction_NS_24const_host_device_scalarIT2_EEPKiS8_PKS5_iiSA_S6_PS5_21rocsparse_index_base_b
	.p2align	8
	.type	_ZN9rocsparseL22gebsrmvn_mxn_16_kernelILj78ELj13ELj6E21rocsparse_complex_numIdEEEvi20rocsparse_direction_NS_24const_host_device_scalarIT2_EEPKiS8_PKS5_iiSA_S6_PS5_21rocsparse_index_base_b,@function
_ZN9rocsparseL22gebsrmvn_mxn_16_kernelILj78ELj13ELj6E21rocsparse_complex_numIdEEEvi20rocsparse_direction_NS_24const_host_device_scalarIT2_EEPKiS8_PKS5_iiSA_S6_PS5_21rocsparse_index_base_b: ; @_ZN9rocsparseL22gebsrmvn_mxn_16_kernelILj78ELj13ELj6E21rocsparse_complex_numIdEEEvi20rocsparse_direction_NS_24const_host_device_scalarIT2_EEPKiS8_PKS5_iiSA_S6_PS5_21rocsparse_index_base_b
; %bb.0:
	s_clause 0x1
	s_load_b64 s[10:11], s[0:1], 0x58
	s_load_b64 s[2:3], s[0:1], 0x8
	v_mov_b32_e32 v1, 0
	s_add_nc_u64 s[4:5], s[0:1], 8
	s_load_b64 s[6:7], s[0:1], 0x40
	s_wait_kmcnt 0x0
	s_bitcmp1_b32 s11, 0
	s_cselect_b32 s3, s5, s3
	s_cselect_b32 s2, s4, s2
	flat_load_b128 v[6:9], v1, s[2:3]
	s_wait_xcnt 0x0
	s_add_nc_u64 s[2:3], s[0:1], 64
	s_delay_alu instid0(SALU_CYCLE_1)
	s_cselect_b32 s3, s3, s7
	s_cselect_b32 s2, s2, s6
	flat_load_b128 v[2:5], v1, s[2:3]
	s_wait_loadcnt_dscnt 0x101
	v_cmp_eq_f64_e32 vcc_lo, 0, v[6:7]
	s_wait_xcnt 0x0
	v_cmp_eq_f64_e64 s2, 0, v[8:9]
	s_and_b32 s4, vcc_lo, s2
	s_mov_b32 s2, -1
	s_and_saveexec_b32 s3, s4
	s_cbranch_execz .LBB107_2
; %bb.1:
	s_wait_loadcnt_dscnt 0x0
	v_cmp_neq_f64_e32 vcc_lo, 1.0, v[2:3]
	v_cmp_neq_f64_e64 s2, 0, v[4:5]
	s_or_b32 s2, vcc_lo, s2
	s_delay_alu instid0(SALU_CYCLE_1)
	s_or_not1_b32 s2, s2, exec_lo
.LBB107_2:
	s_or_b32 exec_lo, exec_lo, s3
	s_and_saveexec_b32 s3, s2
	s_cbranch_execz .LBB107_35
; %bb.3:
	v_mul_u32_u24_e32 v1, 0x2aab, v0
	s_clause 0x1
	s_load_b32 s4, s[0:1], 0x4
	s_load_b64 s[2:3], s[0:1], 0x18
	v_and_b32_e32 v15, 0xffff, v0
	v_lshrrev_b32_e32 v1, 16, v1
	s_delay_alu instid0(VALU_DEP_1) | instskip(NEXT) | instid1(VALU_DEP_1)
	v_mul_lo_u16 v1, v1, 6
	v_sub_nc_u16 v1, v0, v1
	s_delay_alu instid0(VALU_DEP_1) | instskip(SKIP_3) | instid1(SALU_CYCLE_1)
	v_and_b32_e32 v14, 0xffff, v1
	s_wait_kmcnt 0x0
	s_cmp_lg_u32 s4, 1
	s_cselect_b32 s11, -1, 0
	s_and_b32 vcc_lo, exec_lo, s11
	v_mov_b32_e32 v1, v14
	s_cbranch_vccnz .LBB107_5
; %bb.4:
	v_mul_u32_u24_e32 v1, 0x13b2, v15
	s_delay_alu instid0(VALU_DEP_1) | instskip(NEXT) | instid1(VALU_DEP_1)
	v_lshrrev_b32_e32 v1, 16, v1
	v_mul_lo_u16 v10, v1, 43
	s_delay_alu instid0(VALU_DEP_1) | instskip(NEXT) | instid1(VALU_DEP_1)
	v_lshrrev_b16 v10, 8, v10
	v_mul_lo_u16 v10, v10, 6
	s_delay_alu instid0(VALU_DEP_1) | instskip(NEXT) | instid1(VALU_DEP_1)
	v_sub_nc_u16 v1, v1, v10
	v_and_b32_e32 v1, 0xff, v1
.LBB107_5:
	s_bfe_u32 s4, ttmp6, 0x4000c
	s_and_b32 s5, ttmp6, 15
	s_add_co_i32 s4, s4, 1
	s_getreg_b32 s6, hwreg(HW_REG_IB_STS2, 6, 4)
	s_mul_i32 s4, ttmp9, s4
	v_mov_b64_e32 v[12:13], 0
	s_add_co_i32 s5, s5, s4
	s_cmp_eq_u32 s6, 0
	v_mov_b64_e32 v[10:11], 0
	s_cselect_b32 s8, ttmp9, s5
	s_delay_alu instid0(SALU_CYCLE_1) | instskip(NEXT) | instid1(SALU_CYCLE_1)
	s_ashr_i32 s9, s8, 31
	s_lshl_b64 s[4:5], s[8:9], 2
	s_delay_alu instid0(SALU_CYCLE_1)
	s_add_nc_u64 s[4:5], s[2:3], s[4:5]
	s_load_b64 s[14:15], s[4:5], 0x0
	s_load_b64 s[2:3], s[0:1], 0x50
	s_wait_kmcnt 0x0
	s_cmp_ge_i32 s14, s15
	s_cbranch_scc1 .LBB107_10
; %bb.6:
	s_clause 0x1
	s_load_b128 s[4:7], s[0:1], 0x20
	s_load_b64 s[12:13], s[0:1], 0x38
	v_mad_u32 v10, 0x4e, s14, v0
	v_mov_b64_e32 v[12:13], 0
	v_mul_u32_u24_e32 v11, 0x349, v15
	s_wait_xcnt 0x0
	s_mul_i32 s0, s10, 0x4e
	s_sub_co_i32 s1, s14, s10
	s_delay_alu instid0(VALU_DEP_1) | instskip(NEXT) | instid1(VALU_DEP_4)
	v_lshrrev_b32_e32 v15, 16, v11
	v_subrev_nc_u32_e32 v16, s0, v10
	v_mov_b64_e32 v[10:11], v[12:13]
	s_sub_co_i32 s0, s15, s10
	s_branch .LBB107_8
.LBB107_7:                              ;   in Loop: Header=BB107_8 Depth=1
	s_or_b32 exec_lo, exec_lo, s9
	v_add_nc_u32_e32 v16, 0x4e, v16
	s_add_co_i32 s1, s1, 1
	s_delay_alu instid0(SALU_CYCLE_1)
	s_cmp_ge_i32 s1, s0
	s_cbranch_scc1 .LBB107_10
.LBB107_8:                              ; =>This Inner Loop Header: Depth=1
	v_add_nc_u32_e32 v17, s1, v15
	s_mov_b32 s9, exec_lo
	s_delay_alu instid0(VALU_DEP_1)
	v_cmpx_gt_i32_e64 s0, v17
	s_cbranch_execz .LBB107_7
; %bb.9:                                ;   in Loop: Header=BB107_8 Depth=1
	s_wait_kmcnt 0x0
	global_load_b32 v17, v17, s[4:5] scale_offset
	s_wait_loadcnt 0x0
	v_subrev_nc_u32_e32 v17, s10, v17
	s_delay_alu instid0(VALU_DEP_1)
	v_mad_u32 v17, v17, 6, v1
	global_load_b128 v[18:21], v16, s[6:7] scale_offset
	global_load_b128 v[22:25], v17, s[12:13] scale_offset
	s_wait_loadcnt 0x0
	v_fmac_f64_e32 v[10:11], v[18:19], v[22:23]
	v_fmac_f64_e32 v[12:13], v[20:21], v[22:23]
	s_delay_alu instid0(VALU_DEP_2) | instskip(NEXT) | instid1(VALU_DEP_2)
	v_fma_f64 v[10:11], -v[20:21], v[24:25], v[10:11]
	v_fmac_f64_e32 v[12:13], v[18:19], v[24:25]
	s_branch .LBB107_7
.LBB107_10:
	v_lshlrev_b32_e32 v1, 4, v0
	s_and_b32 vcc_lo, exec_lo, s11
	ds_store_b128 v1, v[10:13]
	s_wait_loadcnt_dscnt 0x0
	s_barrier_signal -1
	s_barrier_wait -1
	s_cbranch_vccz .LBB107_20
; %bb.11:
	v_cmp_gt_u16_e32 vcc_lo, 2, v14
	s_and_saveexec_b32 s0, vcc_lo
	s_cbranch_execz .LBB107_13
; %bb.12:
	ds_load_b128 v[16:19], v1 offset:64
	ds_load_b128 v[20:23], v1
	s_wait_dscnt 0x0
	v_add_f64_e32 v[16:17], v[16:17], v[20:21]
	v_add_f64_e32 v[18:19], v[18:19], v[22:23]
	ds_store_b128 v1, v[16:19]
.LBB107_13:
	s_or_b32 exec_lo, exec_lo, s0
	s_wait_dscnt 0x0
	s_barrier_signal -1
	s_barrier_wait -1
	s_and_saveexec_b32 s0, vcc_lo
	s_cbranch_execz .LBB107_15
; %bb.14:
	ds_load_b128 v[16:19], v1
	ds_load_b128 v[20:23], v1 offset:32
	s_wait_dscnt 0x0
	v_add_f64_e32 v[16:17], v[20:21], v[16:17]
	v_add_f64_e32 v[18:19], v[22:23], v[18:19]
	ds_store_b128 v1, v[16:19]
.LBB107_15:
	s_or_b32 exec_lo, exec_lo, s0
	s_delay_alu instid0(SALU_CYCLE_1)
	s_mov_b32 s0, exec_lo
	s_wait_dscnt 0x0
	s_barrier_signal -1
	s_barrier_wait -1
	v_cmpx_eq_u16_e32 0, v14
	s_cbranch_execz .LBB107_17
; %bb.16:
	ds_load_b128 v[14:17], v1
	ds_load_b128 v[18:21], v1 offset:16
	s_wait_dscnt 0x0
	v_add_f64_e32 v[14:15], v[18:19], v[14:15]
	v_add_f64_e32 v[16:17], v[20:21], v[16:17]
	ds_store_b128 v1, v[14:17]
.LBB107_17:
	s_or_b32 exec_lo, exec_lo, s0
	v_mov_b64_e32 v[16:17], v[12:13]
	v_mov_b64_e32 v[14:15], v[10:11]
	s_mov_b32 s0, exec_lo
	s_wait_dscnt 0x0
	s_barrier_signal -1
	s_barrier_wait -1
	v_cmpx_gt_u32_e32 13, v0
; %bb.18:
	v_mad_u32_u24 v14, 0x50, v0, v1
	ds_load_b128 v[14:17], v14
; %bb.19:
	s_or_b32 exec_lo, exec_lo, s0
	s_branch .LBB107_30
.LBB107_20:
                                        ; implicit-def: $vgpr16_vgpr17
	s_cbranch_execz .LBB107_30
; %bb.21:
	v_cmp_gt_u32_e32 vcc_lo, 26, v0
	s_and_saveexec_b32 s0, vcc_lo
	s_cbranch_execz .LBB107_23
; %bb.22:
	s_wait_dscnt 0x0
	ds_load_b128 v[14:17], v1 offset:832
	ds_load_b128 v[18:21], v1
	s_wait_dscnt 0x0
	v_add_f64_e32 v[14:15], v[14:15], v[18:19]
	v_add_f64_e32 v[16:17], v[16:17], v[20:21]
	ds_store_b128 v1, v[14:17]
.LBB107_23:
	s_or_b32 exec_lo, exec_lo, s0
	s_wait_dscnt 0x0
	s_barrier_signal -1
	s_barrier_wait -1
	s_and_saveexec_b32 s0, vcc_lo
	s_cbranch_execz .LBB107_25
; %bb.24:
	ds_load_b128 v[14:17], v1 offset:416
	ds_load_b128 v[18:21], v1
	s_wait_dscnt 0x0
	v_add_f64_e32 v[14:15], v[14:15], v[18:19]
	v_add_f64_e32 v[16:17], v[16:17], v[20:21]
	ds_store_b128 v1, v[14:17]
.LBB107_25:
	s_or_b32 exec_lo, exec_lo, s0
	s_delay_alu instid0(SALU_CYCLE_1)
	s_mov_b32 s0, exec_lo
	s_wait_dscnt 0x0
	v_cmpx_lt_u32_e32 12, v0
	s_xor_b32 s0, exec_lo, s0
; %bb.26:
                                        ; implicit-def: $vgpr1
; %bb.27:
	s_delay_alu instid0(SALU_CYCLE_1)
	s_and_not1_saveexec_b32 s0, s0
	s_cbranch_execz .LBB107_29
; %bb.28:
	ds_load_b128 v[10:13], v1 offset:208
	ds_load_b128 v[14:17], v1
	s_wait_dscnt 0x0
	v_add_f64_e32 v[10:11], v[10:11], v[14:15]
	v_add_f64_e32 v[12:13], v[12:13], v[16:17]
	ds_store_b128 v1, v[10:13]
	s_wait_dscnt 0x0
	ds_load_b128 v[10:13], v1
.LBB107_29:
	s_or_b32 exec_lo, exec_lo, s0
	s_wait_dscnt 0x0
	v_mov_b64_e32 v[16:17], v[12:13]
	v_mov_b64_e32 v[14:15], v[10:11]
.LBB107_30:
	v_cmp_gt_u32_e32 vcc_lo, 13, v0
	s_and_b32 exec_lo, exec_lo, vcc_lo
	s_cbranch_execz .LBB107_35
; %bb.31:
	s_wait_dscnt 0x0
	s_delay_alu instid0(VALU_DEP_3)
	v_mul_f64_e64 v[10:11], v[16:17], -v[8:9]
	v_mul_f64_e32 v[12:13], v[6:7], v[16:17]
	v_cmp_eq_f64_e32 vcc_lo, 0, v[2:3]
	v_cmp_eq_f64_e64 s0, 0, v[4:5]
	v_mad_u32 v0, s8, 13, v0
	v_fmac_f64_e32 v[10:11], v[6:7], v[14:15]
	v_fmac_f64_e32 v[12:13], v[8:9], v[14:15]
	s_and_b32 s0, vcc_lo, s0
	s_delay_alu instid0(SALU_CYCLE_1) | instskip(NEXT) | instid1(SALU_CYCLE_1)
	s_and_saveexec_b32 s1, s0
	s_xor_b32 s0, exec_lo, s1
	s_cbranch_execz .LBB107_33
; %bb.32:
	global_store_b128 v0, v[10:13], s[2:3] scale_offset
                                        ; implicit-def: $vgpr0
                                        ; implicit-def: $vgpr2_vgpr3
                                        ; implicit-def: $vgpr10_vgpr11
.LBB107_33:
	s_wait_xcnt 0x0
	s_and_not1_saveexec_b32 s0, s0
	s_cbranch_execz .LBB107_35
; %bb.34:
	global_load_b128 v[6:9], v0, s[2:3] scale_offset
	s_wait_loadcnt 0x0
	v_fmac_f64_e32 v[10:11], v[2:3], v[6:7]
	v_fmac_f64_e32 v[12:13], v[4:5], v[6:7]
	s_delay_alu instid0(VALU_DEP_2) | instskip(NEXT) | instid1(VALU_DEP_2)
	v_fma_f64 v[10:11], -v[4:5], v[8:9], v[10:11]
	v_fmac_f64_e32 v[12:13], v[2:3], v[8:9]
	global_store_b128 v0, v[10:13], s[2:3] scale_offset
.LBB107_35:
	s_endpgm
	.section	.rodata,"a",@progbits
	.p2align	6, 0x0
	.amdhsa_kernel _ZN9rocsparseL22gebsrmvn_mxn_16_kernelILj78ELj13ELj6E21rocsparse_complex_numIdEEEvi20rocsparse_direction_NS_24const_host_device_scalarIT2_EEPKiS8_PKS5_iiSA_S6_PS5_21rocsparse_index_base_b
		.amdhsa_group_segment_fixed_size 1248
		.amdhsa_private_segment_fixed_size 0
		.amdhsa_kernarg_size 96
		.amdhsa_user_sgpr_count 2
		.amdhsa_user_sgpr_dispatch_ptr 0
		.amdhsa_user_sgpr_queue_ptr 0
		.amdhsa_user_sgpr_kernarg_segment_ptr 1
		.amdhsa_user_sgpr_dispatch_id 0
		.amdhsa_user_sgpr_kernarg_preload_length 0
		.amdhsa_user_sgpr_kernarg_preload_offset 0
		.amdhsa_user_sgpr_private_segment_size 0
		.amdhsa_wavefront_size32 1
		.amdhsa_uses_dynamic_stack 0
		.amdhsa_enable_private_segment 0
		.amdhsa_system_sgpr_workgroup_id_x 1
		.amdhsa_system_sgpr_workgroup_id_y 0
		.amdhsa_system_sgpr_workgroup_id_z 0
		.amdhsa_system_sgpr_workgroup_info 0
		.amdhsa_system_vgpr_workitem_id 0
		.amdhsa_next_free_vgpr 26
		.amdhsa_next_free_sgpr 16
		.amdhsa_named_barrier_count 0
		.amdhsa_reserve_vcc 1
		.amdhsa_float_round_mode_32 0
		.amdhsa_float_round_mode_16_64 0
		.amdhsa_float_denorm_mode_32 3
		.amdhsa_float_denorm_mode_16_64 3
		.amdhsa_fp16_overflow 0
		.amdhsa_memory_ordered 1
		.amdhsa_forward_progress 1
		.amdhsa_inst_pref_size 11
		.amdhsa_round_robin_scheduling 0
		.amdhsa_exception_fp_ieee_invalid_op 0
		.amdhsa_exception_fp_denorm_src 0
		.amdhsa_exception_fp_ieee_div_zero 0
		.amdhsa_exception_fp_ieee_overflow 0
		.amdhsa_exception_fp_ieee_underflow 0
		.amdhsa_exception_fp_ieee_inexact 0
		.amdhsa_exception_int_div_zero 0
	.end_amdhsa_kernel
	.section	.text._ZN9rocsparseL22gebsrmvn_mxn_16_kernelILj78ELj13ELj6E21rocsparse_complex_numIdEEEvi20rocsparse_direction_NS_24const_host_device_scalarIT2_EEPKiS8_PKS5_iiSA_S6_PS5_21rocsparse_index_base_b,"axG",@progbits,_ZN9rocsparseL22gebsrmvn_mxn_16_kernelILj78ELj13ELj6E21rocsparse_complex_numIdEEEvi20rocsparse_direction_NS_24const_host_device_scalarIT2_EEPKiS8_PKS5_iiSA_S6_PS5_21rocsparse_index_base_b,comdat
.Lfunc_end107:
	.size	_ZN9rocsparseL22gebsrmvn_mxn_16_kernelILj78ELj13ELj6E21rocsparse_complex_numIdEEEvi20rocsparse_direction_NS_24const_host_device_scalarIT2_EEPKiS8_PKS5_iiSA_S6_PS5_21rocsparse_index_base_b, .Lfunc_end107-_ZN9rocsparseL22gebsrmvn_mxn_16_kernelILj78ELj13ELj6E21rocsparse_complex_numIdEEEvi20rocsparse_direction_NS_24const_host_device_scalarIT2_EEPKiS8_PKS5_iiSA_S6_PS5_21rocsparse_index_base_b
                                        ; -- End function
	.set _ZN9rocsparseL22gebsrmvn_mxn_16_kernelILj78ELj13ELj6E21rocsparse_complex_numIdEEEvi20rocsparse_direction_NS_24const_host_device_scalarIT2_EEPKiS8_PKS5_iiSA_S6_PS5_21rocsparse_index_base_b.num_vgpr, 26
	.set _ZN9rocsparseL22gebsrmvn_mxn_16_kernelILj78ELj13ELj6E21rocsparse_complex_numIdEEEvi20rocsparse_direction_NS_24const_host_device_scalarIT2_EEPKiS8_PKS5_iiSA_S6_PS5_21rocsparse_index_base_b.num_agpr, 0
	.set _ZN9rocsparseL22gebsrmvn_mxn_16_kernelILj78ELj13ELj6E21rocsparse_complex_numIdEEEvi20rocsparse_direction_NS_24const_host_device_scalarIT2_EEPKiS8_PKS5_iiSA_S6_PS5_21rocsparse_index_base_b.numbered_sgpr, 16
	.set _ZN9rocsparseL22gebsrmvn_mxn_16_kernelILj78ELj13ELj6E21rocsparse_complex_numIdEEEvi20rocsparse_direction_NS_24const_host_device_scalarIT2_EEPKiS8_PKS5_iiSA_S6_PS5_21rocsparse_index_base_b.num_named_barrier, 0
	.set _ZN9rocsparseL22gebsrmvn_mxn_16_kernelILj78ELj13ELj6E21rocsparse_complex_numIdEEEvi20rocsparse_direction_NS_24const_host_device_scalarIT2_EEPKiS8_PKS5_iiSA_S6_PS5_21rocsparse_index_base_b.private_seg_size, 0
	.set _ZN9rocsparseL22gebsrmvn_mxn_16_kernelILj78ELj13ELj6E21rocsparse_complex_numIdEEEvi20rocsparse_direction_NS_24const_host_device_scalarIT2_EEPKiS8_PKS5_iiSA_S6_PS5_21rocsparse_index_base_b.uses_vcc, 1
	.set _ZN9rocsparseL22gebsrmvn_mxn_16_kernelILj78ELj13ELj6E21rocsparse_complex_numIdEEEvi20rocsparse_direction_NS_24const_host_device_scalarIT2_EEPKiS8_PKS5_iiSA_S6_PS5_21rocsparse_index_base_b.uses_flat_scratch, 0
	.set _ZN9rocsparseL22gebsrmvn_mxn_16_kernelILj78ELj13ELj6E21rocsparse_complex_numIdEEEvi20rocsparse_direction_NS_24const_host_device_scalarIT2_EEPKiS8_PKS5_iiSA_S6_PS5_21rocsparse_index_base_b.has_dyn_sized_stack, 0
	.set _ZN9rocsparseL22gebsrmvn_mxn_16_kernelILj78ELj13ELj6E21rocsparse_complex_numIdEEEvi20rocsparse_direction_NS_24const_host_device_scalarIT2_EEPKiS8_PKS5_iiSA_S6_PS5_21rocsparse_index_base_b.has_recursion, 0
	.set _ZN9rocsparseL22gebsrmvn_mxn_16_kernelILj78ELj13ELj6E21rocsparse_complex_numIdEEEvi20rocsparse_direction_NS_24const_host_device_scalarIT2_EEPKiS8_PKS5_iiSA_S6_PS5_21rocsparse_index_base_b.has_indirect_call, 0
	.section	.AMDGPU.csdata,"",@progbits
; Kernel info:
; codeLenInByte = 1296
; TotalNumSgprs: 18
; NumVgprs: 26
; ScratchSize: 0
; MemoryBound: 0
; FloatMode: 240
; IeeeMode: 1
; LDSByteSize: 1248 bytes/workgroup (compile time only)
; SGPRBlocks: 0
; VGPRBlocks: 1
; NumSGPRsForWavesPerEU: 18
; NumVGPRsForWavesPerEU: 26
; NamedBarCnt: 0
; Occupancy: 16
; WaveLimiterHint : 1
; COMPUTE_PGM_RSRC2:SCRATCH_EN: 0
; COMPUTE_PGM_RSRC2:USER_SGPR: 2
; COMPUTE_PGM_RSRC2:TRAP_HANDLER: 0
; COMPUTE_PGM_RSRC2:TGID_X_EN: 1
; COMPUTE_PGM_RSRC2:TGID_Y_EN: 0
; COMPUTE_PGM_RSRC2:TGID_Z_EN: 0
; COMPUTE_PGM_RSRC2:TIDIG_COMP_CNT: 0
	.section	.text._ZN9rocsparseL22gebsrmvn_mxn_16_kernelILj91ELj13ELj7E21rocsparse_complex_numIdEEEvi20rocsparse_direction_NS_24const_host_device_scalarIT2_EEPKiS8_PKS5_iiSA_S6_PS5_21rocsparse_index_base_b,"axG",@progbits,_ZN9rocsparseL22gebsrmvn_mxn_16_kernelILj91ELj13ELj7E21rocsparse_complex_numIdEEEvi20rocsparse_direction_NS_24const_host_device_scalarIT2_EEPKiS8_PKS5_iiSA_S6_PS5_21rocsparse_index_base_b,comdat
	.globl	_ZN9rocsparseL22gebsrmvn_mxn_16_kernelILj91ELj13ELj7E21rocsparse_complex_numIdEEEvi20rocsparse_direction_NS_24const_host_device_scalarIT2_EEPKiS8_PKS5_iiSA_S6_PS5_21rocsparse_index_base_b ; -- Begin function _ZN9rocsparseL22gebsrmvn_mxn_16_kernelILj91ELj13ELj7E21rocsparse_complex_numIdEEEvi20rocsparse_direction_NS_24const_host_device_scalarIT2_EEPKiS8_PKS5_iiSA_S6_PS5_21rocsparse_index_base_b
	.p2align	8
	.type	_ZN9rocsparseL22gebsrmvn_mxn_16_kernelILj91ELj13ELj7E21rocsparse_complex_numIdEEEvi20rocsparse_direction_NS_24const_host_device_scalarIT2_EEPKiS8_PKS5_iiSA_S6_PS5_21rocsparse_index_base_b,@function
_ZN9rocsparseL22gebsrmvn_mxn_16_kernelILj91ELj13ELj7E21rocsparse_complex_numIdEEEvi20rocsparse_direction_NS_24const_host_device_scalarIT2_EEPKiS8_PKS5_iiSA_S6_PS5_21rocsparse_index_base_b: ; @_ZN9rocsparseL22gebsrmvn_mxn_16_kernelILj91ELj13ELj7E21rocsparse_complex_numIdEEEvi20rocsparse_direction_NS_24const_host_device_scalarIT2_EEPKiS8_PKS5_iiSA_S6_PS5_21rocsparse_index_base_b
; %bb.0:
	s_clause 0x1
	s_load_b64 s[10:11], s[0:1], 0x58
	s_load_b64 s[2:3], s[0:1], 0x8
	v_mov_b32_e32 v1, 0
	s_add_nc_u64 s[4:5], s[0:1], 8
	s_load_b64 s[6:7], s[0:1], 0x40
	s_wait_kmcnt 0x0
	s_bitcmp1_b32 s11, 0
	s_cselect_b32 s3, s5, s3
	s_cselect_b32 s2, s4, s2
	flat_load_b128 v[6:9], v1, s[2:3]
	s_wait_xcnt 0x0
	s_add_nc_u64 s[2:3], s[0:1], 64
	s_delay_alu instid0(SALU_CYCLE_1)
	s_cselect_b32 s3, s3, s7
	s_cselect_b32 s2, s2, s6
	flat_load_b128 v[2:5], v1, s[2:3]
	s_wait_loadcnt_dscnt 0x101
	v_cmp_eq_f64_e32 vcc_lo, 0, v[6:7]
	s_wait_xcnt 0x0
	v_cmp_eq_f64_e64 s2, 0, v[8:9]
	s_and_b32 s4, vcc_lo, s2
	s_mov_b32 s2, -1
	s_and_saveexec_b32 s3, s4
	s_cbranch_execz .LBB108_2
; %bb.1:
	s_wait_loadcnt_dscnt 0x0
	v_cmp_neq_f64_e32 vcc_lo, 1.0, v[2:3]
	v_cmp_neq_f64_e64 s2, 0, v[4:5]
	s_or_b32 s2, vcc_lo, s2
	s_delay_alu instid0(SALU_CYCLE_1)
	s_or_not1_b32 s2, s2, exec_lo
.LBB108_2:
	s_or_b32 exec_lo, exec_lo, s3
	s_and_saveexec_b32 s3, s2
	s_cbranch_execz .LBB108_35
; %bb.3:
	v_mul_u32_u24_e32 v1, 0x2493, v0
	s_clause 0x1
	s_load_b32 s4, s[0:1], 0x4
	s_load_b64 s[2:3], s[0:1], 0x18
	v_and_b32_e32 v15, 0xffff, v0
	v_lshrrev_b32_e32 v1, 16, v1
	s_delay_alu instid0(VALU_DEP_1) | instskip(NEXT) | instid1(VALU_DEP_1)
	v_mul_lo_u16 v1, v1, 7
	v_sub_nc_u16 v1, v0, v1
	s_delay_alu instid0(VALU_DEP_1) | instskip(SKIP_3) | instid1(SALU_CYCLE_1)
	v_and_b32_e32 v14, 0xffff, v1
	s_wait_kmcnt 0x0
	s_cmp_lg_u32 s4, 1
	s_cselect_b32 s11, -1, 0
	s_and_b32 vcc_lo, exec_lo, s11
	v_mov_b32_e32 v1, v14
	s_cbranch_vccnz .LBB108_5
; %bb.4:
	v_mul_u32_u24_e32 v1, 0x13b2, v15
	s_delay_alu instid0(VALU_DEP_1) | instskip(NEXT) | instid1(VALU_DEP_1)
	v_lshrrev_b32_e32 v1, 16, v1
	v_mul_lo_u16 v10, v1, 37
	s_delay_alu instid0(VALU_DEP_1) | instskip(NEXT) | instid1(VALU_DEP_1)
	v_lshrrev_b16 v10, 8, v10
	v_mul_lo_u16 v10, v10, 7
	s_delay_alu instid0(VALU_DEP_1) | instskip(NEXT) | instid1(VALU_DEP_1)
	v_sub_nc_u16 v1, v1, v10
	v_and_b32_e32 v1, 0xff, v1
.LBB108_5:
	s_bfe_u32 s4, ttmp6, 0x4000c
	s_and_b32 s5, ttmp6, 15
	s_add_co_i32 s4, s4, 1
	s_getreg_b32 s6, hwreg(HW_REG_IB_STS2, 6, 4)
	s_mul_i32 s4, ttmp9, s4
	v_mov_b64_e32 v[12:13], 0
	s_add_co_i32 s5, s5, s4
	s_cmp_eq_u32 s6, 0
	v_mov_b64_e32 v[10:11], 0
	s_cselect_b32 s8, ttmp9, s5
	s_delay_alu instid0(SALU_CYCLE_1) | instskip(NEXT) | instid1(SALU_CYCLE_1)
	s_ashr_i32 s9, s8, 31
	s_lshl_b64 s[4:5], s[8:9], 2
	s_delay_alu instid0(SALU_CYCLE_1)
	s_add_nc_u64 s[4:5], s[2:3], s[4:5]
	s_load_b64 s[14:15], s[4:5], 0x0
	s_load_b64 s[2:3], s[0:1], 0x50
	s_wait_kmcnt 0x0
	s_cmp_ge_i32 s14, s15
	s_cbranch_scc1 .LBB108_10
; %bb.6:
	s_clause 0x1
	s_load_b128 s[4:7], s[0:1], 0x20
	s_load_b64 s[12:13], s[0:1], 0x38
	v_mad_u32 v10, 0x5b, s14, v0
	v_mov_b64_e32 v[12:13], 0
	v_mul_u32_u24_e32 v11, 0x2d1, v15
	s_wait_xcnt 0x0
	s_mul_i32 s0, s10, 0x5b
	s_sub_co_i32 s1, s14, s10
	s_delay_alu instid0(VALU_DEP_1) | instskip(NEXT) | instid1(VALU_DEP_4)
	v_lshrrev_b32_e32 v15, 16, v11
	v_subrev_nc_u32_e32 v16, s0, v10
	v_mov_b64_e32 v[10:11], v[12:13]
	s_sub_co_i32 s0, s15, s10
	s_branch .LBB108_8
.LBB108_7:                              ;   in Loop: Header=BB108_8 Depth=1
	s_or_b32 exec_lo, exec_lo, s9
	v_add_nc_u32_e32 v16, 0x5b, v16
	s_add_co_i32 s1, s1, 1
	s_delay_alu instid0(SALU_CYCLE_1)
	s_cmp_ge_i32 s1, s0
	s_cbranch_scc1 .LBB108_10
.LBB108_8:                              ; =>This Inner Loop Header: Depth=1
	v_add_nc_u32_e32 v17, s1, v15
	s_mov_b32 s9, exec_lo
	s_delay_alu instid0(VALU_DEP_1)
	v_cmpx_gt_i32_e64 s0, v17
	s_cbranch_execz .LBB108_7
; %bb.9:                                ;   in Loop: Header=BB108_8 Depth=1
	s_wait_kmcnt 0x0
	global_load_b32 v17, v17, s[4:5] scale_offset
	s_wait_loadcnt 0x0
	v_subrev_nc_u32_e32 v17, s10, v17
	s_delay_alu instid0(VALU_DEP_1)
	v_mad_u32 v17, v17, 7, v1
	global_load_b128 v[18:21], v16, s[6:7] scale_offset
	global_load_b128 v[22:25], v17, s[12:13] scale_offset
	s_wait_loadcnt 0x0
	v_fmac_f64_e32 v[10:11], v[18:19], v[22:23]
	v_fmac_f64_e32 v[12:13], v[20:21], v[22:23]
	s_delay_alu instid0(VALU_DEP_2) | instskip(NEXT) | instid1(VALU_DEP_2)
	v_fma_f64 v[10:11], -v[20:21], v[24:25], v[10:11]
	v_fmac_f64_e32 v[12:13], v[18:19], v[24:25]
	s_branch .LBB108_7
.LBB108_10:
	v_lshlrev_b32_e32 v1, 4, v0
	s_and_b32 vcc_lo, exec_lo, s11
	ds_store_b128 v1, v[10:13]
	s_wait_loadcnt_dscnt 0x0
	s_barrier_signal -1
	s_barrier_wait -1
	s_cbranch_vccz .LBB108_20
; %bb.11:
	s_mov_b32 s0, exec_lo
	v_cmpx_gt_u16_e32 3, v14
	s_cbranch_execz .LBB108_13
; %bb.12:
	ds_load_b128 v[16:19], v1 offset:64
	ds_load_b128 v[20:23], v1
	s_wait_dscnt 0x0
	v_add_f64_e32 v[16:17], v[16:17], v[20:21]
	v_add_f64_e32 v[18:19], v[18:19], v[22:23]
	ds_store_b128 v1, v[16:19]
.LBB108_13:
	s_or_b32 exec_lo, exec_lo, s0
	s_delay_alu instid0(SALU_CYCLE_1)
	s_mov_b32 s0, exec_lo
	s_wait_dscnt 0x0
	s_barrier_signal -1
	s_barrier_wait -1
	v_cmpx_gt_u16_e32 2, v14
	s_cbranch_execz .LBB108_15
; %bb.14:
	ds_load_b128 v[16:19], v1
	ds_load_b128 v[20:23], v1 offset:32
	s_wait_dscnt 0x0
	v_add_f64_e32 v[16:17], v[20:21], v[16:17]
	v_add_f64_e32 v[18:19], v[22:23], v[18:19]
	ds_store_b128 v1, v[16:19]
.LBB108_15:
	s_or_b32 exec_lo, exec_lo, s0
	s_delay_alu instid0(SALU_CYCLE_1)
	s_mov_b32 s0, exec_lo
	s_wait_dscnt 0x0
	s_barrier_signal -1
	s_barrier_wait -1
	v_cmpx_eq_u16_e32 0, v14
	s_cbranch_execz .LBB108_17
; %bb.16:
	ds_load_b128 v[14:17], v1
	ds_load_b128 v[18:21], v1 offset:16
	s_wait_dscnt 0x0
	v_add_f64_e32 v[14:15], v[18:19], v[14:15]
	v_add_f64_e32 v[16:17], v[20:21], v[16:17]
	ds_store_b128 v1, v[14:17]
.LBB108_17:
	s_or_b32 exec_lo, exec_lo, s0
	v_mov_b64_e32 v[16:17], v[12:13]
	v_mov_b64_e32 v[14:15], v[10:11]
	s_mov_b32 s0, exec_lo
	s_wait_dscnt 0x0
	s_barrier_signal -1
	s_barrier_wait -1
	v_cmpx_gt_u32_e32 13, v0
; %bb.18:
	v_mad_u32_u24 v14, 0x60, v0, v1
	ds_load_b128 v[14:17], v14
; %bb.19:
	s_or_b32 exec_lo, exec_lo, s0
	s_branch .LBB108_30
.LBB108_20:
                                        ; implicit-def: $vgpr16_vgpr17
	s_cbranch_execz .LBB108_30
; %bb.21:
	s_mov_b32 s0, exec_lo
	v_cmpx_gt_u32_e32 39, v0
	s_cbranch_execz .LBB108_23
; %bb.22:
	s_wait_dscnt 0x0
	ds_load_b128 v[14:17], v1 offset:832
	ds_load_b128 v[18:21], v1
	s_wait_dscnt 0x0
	v_add_f64_e32 v[14:15], v[14:15], v[18:19]
	v_add_f64_e32 v[16:17], v[16:17], v[20:21]
	ds_store_b128 v1, v[14:17]
.LBB108_23:
	s_or_b32 exec_lo, exec_lo, s0
	s_delay_alu instid0(SALU_CYCLE_1)
	s_mov_b32 s0, exec_lo
	s_wait_dscnt 0x0
	s_barrier_signal -1
	s_barrier_wait -1
	v_cmpx_gt_u32_e32 26, v0
	s_cbranch_execz .LBB108_25
; %bb.24:
	ds_load_b128 v[14:17], v1 offset:416
	ds_load_b128 v[18:21], v1
	s_wait_dscnt 0x0
	v_add_f64_e32 v[14:15], v[14:15], v[18:19]
	v_add_f64_e32 v[16:17], v[16:17], v[20:21]
	ds_store_b128 v1, v[14:17]
.LBB108_25:
	s_or_b32 exec_lo, exec_lo, s0
	s_delay_alu instid0(SALU_CYCLE_1)
	s_mov_b32 s0, exec_lo
	s_wait_dscnt 0x0
	v_cmpx_lt_u32_e32 12, v0
	s_xor_b32 s0, exec_lo, s0
; %bb.26:
                                        ; implicit-def: $vgpr1
; %bb.27:
	s_delay_alu instid0(SALU_CYCLE_1)
	s_and_not1_saveexec_b32 s0, s0
	s_cbranch_execz .LBB108_29
; %bb.28:
	ds_load_b128 v[10:13], v1 offset:208
	ds_load_b128 v[14:17], v1
	s_wait_dscnt 0x0
	v_add_f64_e32 v[10:11], v[10:11], v[14:15]
	v_add_f64_e32 v[12:13], v[12:13], v[16:17]
	ds_store_b128 v1, v[10:13]
	s_wait_dscnt 0x0
	ds_load_b128 v[10:13], v1
.LBB108_29:
	s_or_b32 exec_lo, exec_lo, s0
	s_wait_dscnt 0x0
	v_mov_b64_e32 v[16:17], v[12:13]
	v_mov_b64_e32 v[14:15], v[10:11]
.LBB108_30:
	v_cmp_gt_u32_e32 vcc_lo, 13, v0
	s_and_b32 exec_lo, exec_lo, vcc_lo
	s_cbranch_execz .LBB108_35
; %bb.31:
	s_wait_dscnt 0x0
	s_delay_alu instid0(VALU_DEP_3)
	v_mul_f64_e64 v[10:11], v[16:17], -v[8:9]
	v_mul_f64_e32 v[12:13], v[6:7], v[16:17]
	v_cmp_eq_f64_e32 vcc_lo, 0, v[2:3]
	v_cmp_eq_f64_e64 s0, 0, v[4:5]
	v_mad_u32 v0, s8, 13, v0
	v_fmac_f64_e32 v[10:11], v[6:7], v[14:15]
	v_fmac_f64_e32 v[12:13], v[8:9], v[14:15]
	s_and_b32 s0, vcc_lo, s0
	s_delay_alu instid0(SALU_CYCLE_1) | instskip(NEXT) | instid1(SALU_CYCLE_1)
	s_and_saveexec_b32 s1, s0
	s_xor_b32 s0, exec_lo, s1
	s_cbranch_execz .LBB108_33
; %bb.32:
	global_store_b128 v0, v[10:13], s[2:3] scale_offset
                                        ; implicit-def: $vgpr0
                                        ; implicit-def: $vgpr2_vgpr3
                                        ; implicit-def: $vgpr10_vgpr11
.LBB108_33:
	s_wait_xcnt 0x0
	s_and_not1_saveexec_b32 s0, s0
	s_cbranch_execz .LBB108_35
; %bb.34:
	global_load_b128 v[6:9], v0, s[2:3] scale_offset
	s_wait_loadcnt 0x0
	v_fmac_f64_e32 v[10:11], v[2:3], v[6:7]
	v_fmac_f64_e32 v[12:13], v[4:5], v[6:7]
	s_delay_alu instid0(VALU_DEP_2) | instskip(NEXT) | instid1(VALU_DEP_2)
	v_fma_f64 v[10:11], -v[4:5], v[8:9], v[10:11]
	v_fmac_f64_e32 v[12:13], v[2:3], v[8:9]
	global_store_b128 v0, v[10:13], s[2:3] scale_offset
.LBB108_35:
	s_endpgm
	.section	.rodata,"a",@progbits
	.p2align	6, 0x0
	.amdhsa_kernel _ZN9rocsparseL22gebsrmvn_mxn_16_kernelILj91ELj13ELj7E21rocsparse_complex_numIdEEEvi20rocsparse_direction_NS_24const_host_device_scalarIT2_EEPKiS8_PKS5_iiSA_S6_PS5_21rocsparse_index_base_b
		.amdhsa_group_segment_fixed_size 1456
		.amdhsa_private_segment_fixed_size 0
		.amdhsa_kernarg_size 96
		.amdhsa_user_sgpr_count 2
		.amdhsa_user_sgpr_dispatch_ptr 0
		.amdhsa_user_sgpr_queue_ptr 0
		.amdhsa_user_sgpr_kernarg_segment_ptr 1
		.amdhsa_user_sgpr_dispatch_id 0
		.amdhsa_user_sgpr_kernarg_preload_length 0
		.amdhsa_user_sgpr_kernarg_preload_offset 0
		.amdhsa_user_sgpr_private_segment_size 0
		.amdhsa_wavefront_size32 1
		.amdhsa_uses_dynamic_stack 0
		.amdhsa_enable_private_segment 0
		.amdhsa_system_sgpr_workgroup_id_x 1
		.amdhsa_system_sgpr_workgroup_id_y 0
		.amdhsa_system_sgpr_workgroup_id_z 0
		.amdhsa_system_sgpr_workgroup_info 0
		.amdhsa_system_vgpr_workitem_id 0
		.amdhsa_next_free_vgpr 26
		.amdhsa_next_free_sgpr 16
		.amdhsa_named_barrier_count 0
		.amdhsa_reserve_vcc 1
		.amdhsa_float_round_mode_32 0
		.amdhsa_float_round_mode_16_64 0
		.amdhsa_float_denorm_mode_32 3
		.amdhsa_float_denorm_mode_16_64 3
		.amdhsa_fp16_overflow 0
		.amdhsa_memory_ordered 1
		.amdhsa_forward_progress 1
		.amdhsa_inst_pref_size 11
		.amdhsa_round_robin_scheduling 0
		.amdhsa_exception_fp_ieee_invalid_op 0
		.amdhsa_exception_fp_denorm_src 0
		.amdhsa_exception_fp_ieee_div_zero 0
		.amdhsa_exception_fp_ieee_overflow 0
		.amdhsa_exception_fp_ieee_underflow 0
		.amdhsa_exception_fp_ieee_inexact 0
		.amdhsa_exception_int_div_zero 0
	.end_amdhsa_kernel
	.section	.text._ZN9rocsparseL22gebsrmvn_mxn_16_kernelILj91ELj13ELj7E21rocsparse_complex_numIdEEEvi20rocsparse_direction_NS_24const_host_device_scalarIT2_EEPKiS8_PKS5_iiSA_S6_PS5_21rocsparse_index_base_b,"axG",@progbits,_ZN9rocsparseL22gebsrmvn_mxn_16_kernelILj91ELj13ELj7E21rocsparse_complex_numIdEEEvi20rocsparse_direction_NS_24const_host_device_scalarIT2_EEPKiS8_PKS5_iiSA_S6_PS5_21rocsparse_index_base_b,comdat
.Lfunc_end108:
	.size	_ZN9rocsparseL22gebsrmvn_mxn_16_kernelILj91ELj13ELj7E21rocsparse_complex_numIdEEEvi20rocsparse_direction_NS_24const_host_device_scalarIT2_EEPKiS8_PKS5_iiSA_S6_PS5_21rocsparse_index_base_b, .Lfunc_end108-_ZN9rocsparseL22gebsrmvn_mxn_16_kernelILj91ELj13ELj7E21rocsparse_complex_numIdEEEvi20rocsparse_direction_NS_24const_host_device_scalarIT2_EEPKiS8_PKS5_iiSA_S6_PS5_21rocsparse_index_base_b
                                        ; -- End function
	.set _ZN9rocsparseL22gebsrmvn_mxn_16_kernelILj91ELj13ELj7E21rocsparse_complex_numIdEEEvi20rocsparse_direction_NS_24const_host_device_scalarIT2_EEPKiS8_PKS5_iiSA_S6_PS5_21rocsparse_index_base_b.num_vgpr, 26
	.set _ZN9rocsparseL22gebsrmvn_mxn_16_kernelILj91ELj13ELj7E21rocsparse_complex_numIdEEEvi20rocsparse_direction_NS_24const_host_device_scalarIT2_EEPKiS8_PKS5_iiSA_S6_PS5_21rocsparse_index_base_b.num_agpr, 0
	.set _ZN9rocsparseL22gebsrmvn_mxn_16_kernelILj91ELj13ELj7E21rocsparse_complex_numIdEEEvi20rocsparse_direction_NS_24const_host_device_scalarIT2_EEPKiS8_PKS5_iiSA_S6_PS5_21rocsparse_index_base_b.numbered_sgpr, 16
	.set _ZN9rocsparseL22gebsrmvn_mxn_16_kernelILj91ELj13ELj7E21rocsparse_complex_numIdEEEvi20rocsparse_direction_NS_24const_host_device_scalarIT2_EEPKiS8_PKS5_iiSA_S6_PS5_21rocsparse_index_base_b.num_named_barrier, 0
	.set _ZN9rocsparseL22gebsrmvn_mxn_16_kernelILj91ELj13ELj7E21rocsparse_complex_numIdEEEvi20rocsparse_direction_NS_24const_host_device_scalarIT2_EEPKiS8_PKS5_iiSA_S6_PS5_21rocsparse_index_base_b.private_seg_size, 0
	.set _ZN9rocsparseL22gebsrmvn_mxn_16_kernelILj91ELj13ELj7E21rocsparse_complex_numIdEEEvi20rocsparse_direction_NS_24const_host_device_scalarIT2_EEPKiS8_PKS5_iiSA_S6_PS5_21rocsparse_index_base_b.uses_vcc, 1
	.set _ZN9rocsparseL22gebsrmvn_mxn_16_kernelILj91ELj13ELj7E21rocsparse_complex_numIdEEEvi20rocsparse_direction_NS_24const_host_device_scalarIT2_EEPKiS8_PKS5_iiSA_S6_PS5_21rocsparse_index_base_b.uses_flat_scratch, 0
	.set _ZN9rocsparseL22gebsrmvn_mxn_16_kernelILj91ELj13ELj7E21rocsparse_complex_numIdEEEvi20rocsparse_direction_NS_24const_host_device_scalarIT2_EEPKiS8_PKS5_iiSA_S6_PS5_21rocsparse_index_base_b.has_dyn_sized_stack, 0
	.set _ZN9rocsparseL22gebsrmvn_mxn_16_kernelILj91ELj13ELj7E21rocsparse_complex_numIdEEEvi20rocsparse_direction_NS_24const_host_device_scalarIT2_EEPKiS8_PKS5_iiSA_S6_PS5_21rocsparse_index_base_b.has_recursion, 0
	.set _ZN9rocsparseL22gebsrmvn_mxn_16_kernelILj91ELj13ELj7E21rocsparse_complex_numIdEEEvi20rocsparse_direction_NS_24const_host_device_scalarIT2_EEPKiS8_PKS5_iiSA_S6_PS5_21rocsparse_index_base_b.has_indirect_call, 0
	.section	.AMDGPU.csdata,"",@progbits
; Kernel info:
; codeLenInByte = 1312
; TotalNumSgprs: 18
; NumVgprs: 26
; ScratchSize: 0
; MemoryBound: 0
; FloatMode: 240
; IeeeMode: 1
; LDSByteSize: 1456 bytes/workgroup (compile time only)
; SGPRBlocks: 0
; VGPRBlocks: 1
; NumSGPRsForWavesPerEU: 18
; NumVGPRsForWavesPerEU: 26
; NamedBarCnt: 0
; Occupancy: 16
; WaveLimiterHint : 1
; COMPUTE_PGM_RSRC2:SCRATCH_EN: 0
; COMPUTE_PGM_RSRC2:USER_SGPR: 2
; COMPUTE_PGM_RSRC2:TRAP_HANDLER: 0
; COMPUTE_PGM_RSRC2:TGID_X_EN: 1
; COMPUTE_PGM_RSRC2:TGID_Y_EN: 0
; COMPUTE_PGM_RSRC2:TGID_Z_EN: 0
; COMPUTE_PGM_RSRC2:TIDIG_COMP_CNT: 0
	.section	.text._ZN9rocsparseL22gebsrmvn_mxn_16_kernelILj104ELj13ELj8E21rocsparse_complex_numIdEEEvi20rocsparse_direction_NS_24const_host_device_scalarIT2_EEPKiS8_PKS5_iiSA_S6_PS5_21rocsparse_index_base_b,"axG",@progbits,_ZN9rocsparseL22gebsrmvn_mxn_16_kernelILj104ELj13ELj8E21rocsparse_complex_numIdEEEvi20rocsparse_direction_NS_24const_host_device_scalarIT2_EEPKiS8_PKS5_iiSA_S6_PS5_21rocsparse_index_base_b,comdat
	.globl	_ZN9rocsparseL22gebsrmvn_mxn_16_kernelILj104ELj13ELj8E21rocsparse_complex_numIdEEEvi20rocsparse_direction_NS_24const_host_device_scalarIT2_EEPKiS8_PKS5_iiSA_S6_PS5_21rocsparse_index_base_b ; -- Begin function _ZN9rocsparseL22gebsrmvn_mxn_16_kernelILj104ELj13ELj8E21rocsparse_complex_numIdEEEvi20rocsparse_direction_NS_24const_host_device_scalarIT2_EEPKiS8_PKS5_iiSA_S6_PS5_21rocsparse_index_base_b
	.p2align	8
	.type	_ZN9rocsparseL22gebsrmvn_mxn_16_kernelILj104ELj13ELj8E21rocsparse_complex_numIdEEEvi20rocsparse_direction_NS_24const_host_device_scalarIT2_EEPKiS8_PKS5_iiSA_S6_PS5_21rocsparse_index_base_b,@function
_ZN9rocsparseL22gebsrmvn_mxn_16_kernelILj104ELj13ELj8E21rocsparse_complex_numIdEEEvi20rocsparse_direction_NS_24const_host_device_scalarIT2_EEPKiS8_PKS5_iiSA_S6_PS5_21rocsparse_index_base_b: ; @_ZN9rocsparseL22gebsrmvn_mxn_16_kernelILj104ELj13ELj8E21rocsparse_complex_numIdEEEvi20rocsparse_direction_NS_24const_host_device_scalarIT2_EEPKiS8_PKS5_iiSA_S6_PS5_21rocsparse_index_base_b
; %bb.0:
	s_clause 0x1
	s_load_b64 s[10:11], s[0:1], 0x58
	s_load_b64 s[2:3], s[0:1], 0x8
	v_mov_b32_e32 v1, 0
	s_add_nc_u64 s[4:5], s[0:1], 8
	s_load_b64 s[6:7], s[0:1], 0x40
	s_wait_kmcnt 0x0
	s_bitcmp1_b32 s11, 0
	s_cselect_b32 s3, s5, s3
	s_cselect_b32 s2, s4, s2
	flat_load_b128 v[6:9], v1, s[2:3]
	s_wait_xcnt 0x0
	s_add_nc_u64 s[2:3], s[0:1], 64
	s_delay_alu instid0(SALU_CYCLE_1)
	s_cselect_b32 s3, s3, s7
	s_cselect_b32 s2, s2, s6
	flat_load_b128 v[2:5], v1, s[2:3]
	s_wait_loadcnt_dscnt 0x101
	v_cmp_eq_f64_e32 vcc_lo, 0, v[6:7]
	s_wait_xcnt 0x0
	v_cmp_eq_f64_e64 s2, 0, v[8:9]
	s_and_b32 s4, vcc_lo, s2
	s_mov_b32 s2, -1
	s_and_saveexec_b32 s3, s4
	s_cbranch_execz .LBB109_2
; %bb.1:
	s_wait_loadcnt_dscnt 0x0
	v_cmp_neq_f64_e32 vcc_lo, 1.0, v[2:3]
	v_cmp_neq_f64_e64 s2, 0, v[4:5]
	s_or_b32 s2, vcc_lo, s2
	s_delay_alu instid0(SALU_CYCLE_1)
	s_or_not1_b32 s2, s2, exec_lo
.LBB109_2:
	s_or_b32 exec_lo, exec_lo, s3
	s_and_saveexec_b32 s3, s2
	s_cbranch_execz .LBB109_35
; %bb.3:
	s_clause 0x1
	s_load_b32 s4, s[0:1], 0x4
	s_load_b64 s[2:3], s[0:1], 0x18
	v_and_b32_e32 v14, 7, v0
	s_delay_alu instid0(VALU_DEP_1) | instskip(SKIP_3) | instid1(SALU_CYCLE_1)
	v_mov_b32_e32 v1, v14
	s_wait_kmcnt 0x0
	s_cmp_lg_u32 s4, 1
	s_cselect_b32 s11, -1, 0
	s_and_b32 vcc_lo, exec_lo, s11
	s_cbranch_vccnz .LBB109_5
; %bb.4:
	v_mul_u32_u24_e32 v1, 0x13b2, v0
	s_delay_alu instid0(VALU_DEP_1)
	v_bfe_u32 v1, v1, 16, 3
.LBB109_5:
	s_bfe_u32 s4, ttmp6, 0x4000c
	s_and_b32 s5, ttmp6, 15
	s_add_co_i32 s4, s4, 1
	s_getreg_b32 s6, hwreg(HW_REG_IB_STS2, 6, 4)
	s_mul_i32 s4, ttmp9, s4
	v_mov_b64_e32 v[12:13], 0
	s_add_co_i32 s5, s5, s4
	s_cmp_eq_u32 s6, 0
	v_mov_b64_e32 v[10:11], 0
	s_cselect_b32 s8, ttmp9, s5
	s_delay_alu instid0(SALU_CYCLE_1) | instskip(NEXT) | instid1(SALU_CYCLE_1)
	s_ashr_i32 s9, s8, 31
	s_lshl_b64 s[4:5], s[8:9], 2
	s_delay_alu instid0(SALU_CYCLE_1)
	s_add_nc_u64 s[4:5], s[2:3], s[4:5]
	s_load_b64 s[14:15], s[4:5], 0x0
	s_load_b64 s[2:3], s[0:1], 0x50
	s_wait_kmcnt 0x0
	s_cmp_ge_i32 s14, s15
	s_cbranch_scc1 .LBB109_10
; %bb.6:
	s_clause 0x1
	s_load_b128 s[4:7], s[0:1], 0x20
	s_load_b64 s[12:13], s[0:1], 0x38
	v_mad_u32 v10, 0x68, s14, v0
	v_mov_b64_e32 v[12:13], 0
	v_mul_u32_u24_e32 v11, 0x277, v0
	s_wait_xcnt 0x0
	s_mul_i32 s0, s10, 0x68
	s_sub_co_i32 s1, s14, s10
	s_delay_alu instid0(VALU_DEP_1) | instskip(NEXT) | instid1(VALU_DEP_4)
	v_lshrrev_b32_e32 v15, 16, v11
	v_subrev_nc_u32_e32 v16, s0, v10
	v_mov_b64_e32 v[10:11], v[12:13]
	s_sub_co_i32 s0, s15, s10
	s_branch .LBB109_8
.LBB109_7:                              ;   in Loop: Header=BB109_8 Depth=1
	s_or_b32 exec_lo, exec_lo, s9
	v_add_nc_u32_e32 v16, 0x68, v16
	s_add_co_i32 s1, s1, 1
	s_delay_alu instid0(SALU_CYCLE_1)
	s_cmp_ge_i32 s1, s0
	s_cbranch_scc1 .LBB109_10
.LBB109_8:                              ; =>This Inner Loop Header: Depth=1
	v_add_nc_u32_e32 v17, s1, v15
	s_mov_b32 s9, exec_lo
	s_delay_alu instid0(VALU_DEP_1)
	v_cmpx_gt_i32_e64 s0, v17
	s_cbranch_execz .LBB109_7
; %bb.9:                                ;   in Loop: Header=BB109_8 Depth=1
	s_wait_kmcnt 0x0
	global_load_b32 v17, v17, s[4:5] scale_offset
	s_wait_loadcnt 0x0
	v_subrev_nc_u32_e32 v17, s10, v17
	s_delay_alu instid0(VALU_DEP_1)
	v_lshl_or_b32 v17, v17, 3, v1
	global_load_b128 v[18:21], v16, s[6:7] scale_offset
	global_load_b128 v[22:25], v17, s[12:13] scale_offset
	s_wait_loadcnt 0x0
	v_fmac_f64_e32 v[10:11], v[18:19], v[22:23]
	v_fmac_f64_e32 v[12:13], v[20:21], v[22:23]
	s_delay_alu instid0(VALU_DEP_2) | instskip(NEXT) | instid1(VALU_DEP_2)
	v_fma_f64 v[10:11], -v[20:21], v[24:25], v[10:11]
	v_fmac_f64_e32 v[12:13], v[18:19], v[24:25]
	s_branch .LBB109_7
.LBB109_10:
	v_lshlrev_b32_e32 v1, 4, v0
	s_and_b32 vcc_lo, exec_lo, s11
	ds_store_b128 v1, v[10:13]
	s_wait_loadcnt_dscnt 0x0
	s_barrier_signal -1
	s_barrier_wait -1
	s_cbranch_vccz .LBB109_20
; %bb.11:
	s_mov_b32 s0, exec_lo
	v_cmpx_gt_u32_e32 4, v14
	s_cbranch_execz .LBB109_13
; %bb.12:
	ds_load_b128 v[16:19], v1 offset:64
	ds_load_b128 v[20:23], v1
	s_wait_dscnt 0x0
	v_add_f64_e32 v[16:17], v[16:17], v[20:21]
	v_add_f64_e32 v[18:19], v[18:19], v[22:23]
	ds_store_b128 v1, v[16:19]
.LBB109_13:
	s_or_b32 exec_lo, exec_lo, s0
	s_delay_alu instid0(SALU_CYCLE_1)
	s_mov_b32 s0, exec_lo
	s_wait_dscnt 0x0
	s_barrier_signal -1
	s_barrier_wait -1
	v_cmpx_gt_u32_e32 2, v14
	s_cbranch_execz .LBB109_15
; %bb.14:
	ds_load_b128 v[16:19], v1
	ds_load_b128 v[20:23], v1 offset:32
	s_wait_dscnt 0x0
	v_add_f64_e32 v[16:17], v[20:21], v[16:17]
	v_add_f64_e32 v[18:19], v[22:23], v[18:19]
	ds_store_b128 v1, v[16:19]
.LBB109_15:
	s_or_b32 exec_lo, exec_lo, s0
	s_delay_alu instid0(SALU_CYCLE_1)
	s_mov_b32 s0, exec_lo
	s_wait_dscnt 0x0
	s_barrier_signal -1
	s_barrier_wait -1
	v_cmpx_eq_u32_e32 0, v14
	s_cbranch_execz .LBB109_17
; %bb.16:
	ds_load_b128 v[14:17], v1
	ds_load_b128 v[18:21], v1 offset:16
	s_wait_dscnt 0x0
	v_add_f64_e32 v[14:15], v[18:19], v[14:15]
	v_add_f64_e32 v[16:17], v[20:21], v[16:17]
	ds_store_b128 v1, v[14:17]
.LBB109_17:
	s_or_b32 exec_lo, exec_lo, s0
	v_mov_b64_e32 v[16:17], v[12:13]
	v_mov_b64_e32 v[14:15], v[10:11]
	s_mov_b32 s0, exec_lo
	s_wait_dscnt 0x0
	s_barrier_signal -1
	s_barrier_wait -1
	v_cmpx_gt_u32_e32 13, v0
; %bb.18:
	v_mad_u32_u24 v14, 0x70, v0, v1
	ds_load_b128 v[14:17], v14
; %bb.19:
	s_or_b32 exec_lo, exec_lo, s0
	s_branch .LBB109_30
.LBB109_20:
                                        ; implicit-def: $vgpr16_vgpr17
	s_cbranch_execz .LBB109_30
; %bb.21:
	s_mov_b32 s0, exec_lo
	v_cmpx_gt_u32_e32 52, v0
	s_cbranch_execz .LBB109_23
; %bb.22:
	s_wait_dscnt 0x0
	ds_load_b128 v[14:17], v1 offset:832
	ds_load_b128 v[18:21], v1
	s_wait_dscnt 0x0
	v_add_f64_e32 v[14:15], v[14:15], v[18:19]
	v_add_f64_e32 v[16:17], v[16:17], v[20:21]
	ds_store_b128 v1, v[14:17]
.LBB109_23:
	s_or_b32 exec_lo, exec_lo, s0
	s_delay_alu instid0(SALU_CYCLE_1)
	s_mov_b32 s0, exec_lo
	s_wait_dscnt 0x0
	s_barrier_signal -1
	s_barrier_wait -1
	v_cmpx_gt_u32_e32 26, v0
	s_cbranch_execz .LBB109_25
; %bb.24:
	ds_load_b128 v[14:17], v1 offset:416
	ds_load_b128 v[18:21], v1
	s_wait_dscnt 0x0
	v_add_f64_e32 v[14:15], v[14:15], v[18:19]
	v_add_f64_e32 v[16:17], v[16:17], v[20:21]
	ds_store_b128 v1, v[14:17]
.LBB109_25:
	s_or_b32 exec_lo, exec_lo, s0
	s_delay_alu instid0(SALU_CYCLE_1)
	s_mov_b32 s0, exec_lo
	s_wait_dscnt 0x0
	v_cmpx_lt_u32_e32 12, v0
	s_xor_b32 s0, exec_lo, s0
; %bb.26:
                                        ; implicit-def: $vgpr1
; %bb.27:
	s_delay_alu instid0(SALU_CYCLE_1)
	s_and_not1_saveexec_b32 s0, s0
	s_cbranch_execz .LBB109_29
; %bb.28:
	ds_load_b128 v[10:13], v1 offset:208
	ds_load_b128 v[14:17], v1
	s_wait_dscnt 0x0
	v_add_f64_e32 v[10:11], v[10:11], v[14:15]
	v_add_f64_e32 v[12:13], v[12:13], v[16:17]
	ds_store_b128 v1, v[10:13]
	s_wait_dscnt 0x0
	ds_load_b128 v[10:13], v1
.LBB109_29:
	s_or_b32 exec_lo, exec_lo, s0
	s_wait_dscnt 0x0
	v_mov_b64_e32 v[16:17], v[12:13]
	v_mov_b64_e32 v[14:15], v[10:11]
.LBB109_30:
	v_cmp_gt_u32_e32 vcc_lo, 13, v0
	s_and_b32 exec_lo, exec_lo, vcc_lo
	s_cbranch_execz .LBB109_35
; %bb.31:
	s_wait_dscnt 0x0
	s_delay_alu instid0(VALU_DEP_3)
	v_mul_f64_e64 v[10:11], v[16:17], -v[8:9]
	v_mul_f64_e32 v[12:13], v[6:7], v[16:17]
	v_cmp_eq_f64_e32 vcc_lo, 0, v[2:3]
	v_cmp_eq_f64_e64 s0, 0, v[4:5]
	v_mad_u32 v0, s8, 13, v0
	v_fmac_f64_e32 v[10:11], v[6:7], v[14:15]
	v_fmac_f64_e32 v[12:13], v[8:9], v[14:15]
	s_and_b32 s0, vcc_lo, s0
	s_delay_alu instid0(SALU_CYCLE_1) | instskip(NEXT) | instid1(SALU_CYCLE_1)
	s_and_saveexec_b32 s1, s0
	s_xor_b32 s0, exec_lo, s1
	s_cbranch_execz .LBB109_33
; %bb.32:
	global_store_b128 v0, v[10:13], s[2:3] scale_offset
                                        ; implicit-def: $vgpr0
                                        ; implicit-def: $vgpr2_vgpr3
                                        ; implicit-def: $vgpr10_vgpr11
.LBB109_33:
	s_wait_xcnt 0x0
	s_and_not1_saveexec_b32 s0, s0
	s_cbranch_execz .LBB109_35
; %bb.34:
	global_load_b128 v[6:9], v0, s[2:3] scale_offset
	s_wait_loadcnt 0x0
	v_fmac_f64_e32 v[10:11], v[2:3], v[6:7]
	v_fmac_f64_e32 v[12:13], v[4:5], v[6:7]
	s_delay_alu instid0(VALU_DEP_2) | instskip(NEXT) | instid1(VALU_DEP_2)
	v_fma_f64 v[10:11], -v[4:5], v[8:9], v[10:11]
	v_fmac_f64_e32 v[12:13], v[2:3], v[8:9]
	global_store_b128 v0, v[10:13], s[2:3] scale_offset
.LBB109_35:
	s_endpgm
	.section	.rodata,"a",@progbits
	.p2align	6, 0x0
	.amdhsa_kernel _ZN9rocsparseL22gebsrmvn_mxn_16_kernelILj104ELj13ELj8E21rocsparse_complex_numIdEEEvi20rocsparse_direction_NS_24const_host_device_scalarIT2_EEPKiS8_PKS5_iiSA_S6_PS5_21rocsparse_index_base_b
		.amdhsa_group_segment_fixed_size 1664
		.amdhsa_private_segment_fixed_size 0
		.amdhsa_kernarg_size 96
		.amdhsa_user_sgpr_count 2
		.amdhsa_user_sgpr_dispatch_ptr 0
		.amdhsa_user_sgpr_queue_ptr 0
		.amdhsa_user_sgpr_kernarg_segment_ptr 1
		.amdhsa_user_sgpr_dispatch_id 0
		.amdhsa_user_sgpr_kernarg_preload_length 0
		.amdhsa_user_sgpr_kernarg_preload_offset 0
		.amdhsa_user_sgpr_private_segment_size 0
		.amdhsa_wavefront_size32 1
		.amdhsa_uses_dynamic_stack 0
		.amdhsa_enable_private_segment 0
		.amdhsa_system_sgpr_workgroup_id_x 1
		.amdhsa_system_sgpr_workgroup_id_y 0
		.amdhsa_system_sgpr_workgroup_id_z 0
		.amdhsa_system_sgpr_workgroup_info 0
		.amdhsa_system_vgpr_workitem_id 0
		.amdhsa_next_free_vgpr 26
		.amdhsa_next_free_sgpr 16
		.amdhsa_named_barrier_count 0
		.amdhsa_reserve_vcc 1
		.amdhsa_float_round_mode_32 0
		.amdhsa_float_round_mode_16_64 0
		.amdhsa_float_denorm_mode_32 3
		.amdhsa_float_denorm_mode_16_64 3
		.amdhsa_fp16_overflow 0
		.amdhsa_memory_ordered 1
		.amdhsa_forward_progress 1
		.amdhsa_inst_pref_size 10
		.amdhsa_round_robin_scheduling 0
		.amdhsa_exception_fp_ieee_invalid_op 0
		.amdhsa_exception_fp_denorm_src 0
		.amdhsa_exception_fp_ieee_div_zero 0
		.amdhsa_exception_fp_ieee_overflow 0
		.amdhsa_exception_fp_ieee_underflow 0
		.amdhsa_exception_fp_ieee_inexact 0
		.amdhsa_exception_int_div_zero 0
	.end_amdhsa_kernel
	.section	.text._ZN9rocsparseL22gebsrmvn_mxn_16_kernelILj104ELj13ELj8E21rocsparse_complex_numIdEEEvi20rocsparse_direction_NS_24const_host_device_scalarIT2_EEPKiS8_PKS5_iiSA_S6_PS5_21rocsparse_index_base_b,"axG",@progbits,_ZN9rocsparseL22gebsrmvn_mxn_16_kernelILj104ELj13ELj8E21rocsparse_complex_numIdEEEvi20rocsparse_direction_NS_24const_host_device_scalarIT2_EEPKiS8_PKS5_iiSA_S6_PS5_21rocsparse_index_base_b,comdat
.Lfunc_end109:
	.size	_ZN9rocsparseL22gebsrmvn_mxn_16_kernelILj104ELj13ELj8E21rocsparse_complex_numIdEEEvi20rocsparse_direction_NS_24const_host_device_scalarIT2_EEPKiS8_PKS5_iiSA_S6_PS5_21rocsparse_index_base_b, .Lfunc_end109-_ZN9rocsparseL22gebsrmvn_mxn_16_kernelILj104ELj13ELj8E21rocsparse_complex_numIdEEEvi20rocsparse_direction_NS_24const_host_device_scalarIT2_EEPKiS8_PKS5_iiSA_S6_PS5_21rocsparse_index_base_b
                                        ; -- End function
	.set _ZN9rocsparseL22gebsrmvn_mxn_16_kernelILj104ELj13ELj8E21rocsparse_complex_numIdEEEvi20rocsparse_direction_NS_24const_host_device_scalarIT2_EEPKiS8_PKS5_iiSA_S6_PS5_21rocsparse_index_base_b.num_vgpr, 26
	.set _ZN9rocsparseL22gebsrmvn_mxn_16_kernelILj104ELj13ELj8E21rocsparse_complex_numIdEEEvi20rocsparse_direction_NS_24const_host_device_scalarIT2_EEPKiS8_PKS5_iiSA_S6_PS5_21rocsparse_index_base_b.num_agpr, 0
	.set _ZN9rocsparseL22gebsrmvn_mxn_16_kernelILj104ELj13ELj8E21rocsparse_complex_numIdEEEvi20rocsparse_direction_NS_24const_host_device_scalarIT2_EEPKiS8_PKS5_iiSA_S6_PS5_21rocsparse_index_base_b.numbered_sgpr, 16
	.set _ZN9rocsparseL22gebsrmvn_mxn_16_kernelILj104ELj13ELj8E21rocsparse_complex_numIdEEEvi20rocsparse_direction_NS_24const_host_device_scalarIT2_EEPKiS8_PKS5_iiSA_S6_PS5_21rocsparse_index_base_b.num_named_barrier, 0
	.set _ZN9rocsparseL22gebsrmvn_mxn_16_kernelILj104ELj13ELj8E21rocsparse_complex_numIdEEEvi20rocsparse_direction_NS_24const_host_device_scalarIT2_EEPKiS8_PKS5_iiSA_S6_PS5_21rocsparse_index_base_b.private_seg_size, 0
	.set _ZN9rocsparseL22gebsrmvn_mxn_16_kernelILj104ELj13ELj8E21rocsparse_complex_numIdEEEvi20rocsparse_direction_NS_24const_host_device_scalarIT2_EEPKiS8_PKS5_iiSA_S6_PS5_21rocsparse_index_base_b.uses_vcc, 1
	.set _ZN9rocsparseL22gebsrmvn_mxn_16_kernelILj104ELj13ELj8E21rocsparse_complex_numIdEEEvi20rocsparse_direction_NS_24const_host_device_scalarIT2_EEPKiS8_PKS5_iiSA_S6_PS5_21rocsparse_index_base_b.uses_flat_scratch, 0
	.set _ZN9rocsparseL22gebsrmvn_mxn_16_kernelILj104ELj13ELj8E21rocsparse_complex_numIdEEEvi20rocsparse_direction_NS_24const_host_device_scalarIT2_EEPKiS8_PKS5_iiSA_S6_PS5_21rocsparse_index_base_b.has_dyn_sized_stack, 0
	.set _ZN9rocsparseL22gebsrmvn_mxn_16_kernelILj104ELj13ELj8E21rocsparse_complex_numIdEEEvi20rocsparse_direction_NS_24const_host_device_scalarIT2_EEPKiS8_PKS5_iiSA_S6_PS5_21rocsparse_index_base_b.has_recursion, 0
	.set _ZN9rocsparseL22gebsrmvn_mxn_16_kernelILj104ELj13ELj8E21rocsparse_complex_numIdEEEvi20rocsparse_direction_NS_24const_host_device_scalarIT2_EEPKiS8_PKS5_iiSA_S6_PS5_21rocsparse_index_base_b.has_indirect_call, 0
	.section	.AMDGPU.csdata,"",@progbits
; Kernel info:
; codeLenInByte = 1224
; TotalNumSgprs: 18
; NumVgprs: 26
; ScratchSize: 0
; MemoryBound: 0
; FloatMode: 240
; IeeeMode: 1
; LDSByteSize: 1664 bytes/workgroup (compile time only)
; SGPRBlocks: 0
; VGPRBlocks: 1
; NumSGPRsForWavesPerEU: 18
; NumVGPRsForWavesPerEU: 26
; NamedBarCnt: 0
; Occupancy: 16
; WaveLimiterHint : 1
; COMPUTE_PGM_RSRC2:SCRATCH_EN: 0
; COMPUTE_PGM_RSRC2:USER_SGPR: 2
; COMPUTE_PGM_RSRC2:TRAP_HANDLER: 0
; COMPUTE_PGM_RSRC2:TGID_X_EN: 1
; COMPUTE_PGM_RSRC2:TGID_Y_EN: 0
; COMPUTE_PGM_RSRC2:TGID_Z_EN: 0
; COMPUTE_PGM_RSRC2:TIDIG_COMP_CNT: 0
	.section	.text._ZN9rocsparseL23gebsrmvn_general_kernelILj256ELj16E21rocsparse_complex_numIdEEEvi20rocsparse_direction_NS_24const_host_device_scalarIT1_EEPKiS8_PKS5_iiSA_S6_PS5_21rocsparse_index_base_b,"axG",@progbits,_ZN9rocsparseL23gebsrmvn_general_kernelILj256ELj16E21rocsparse_complex_numIdEEEvi20rocsparse_direction_NS_24const_host_device_scalarIT1_EEPKiS8_PKS5_iiSA_S6_PS5_21rocsparse_index_base_b,comdat
	.globl	_ZN9rocsparseL23gebsrmvn_general_kernelILj256ELj16E21rocsparse_complex_numIdEEEvi20rocsparse_direction_NS_24const_host_device_scalarIT1_EEPKiS8_PKS5_iiSA_S6_PS5_21rocsparse_index_base_b ; -- Begin function _ZN9rocsparseL23gebsrmvn_general_kernelILj256ELj16E21rocsparse_complex_numIdEEEvi20rocsparse_direction_NS_24const_host_device_scalarIT1_EEPKiS8_PKS5_iiSA_S6_PS5_21rocsparse_index_base_b
	.p2align	8
	.type	_ZN9rocsparseL23gebsrmvn_general_kernelILj256ELj16E21rocsparse_complex_numIdEEEvi20rocsparse_direction_NS_24const_host_device_scalarIT1_EEPKiS8_PKS5_iiSA_S6_PS5_21rocsparse_index_base_b,@function
_ZN9rocsparseL23gebsrmvn_general_kernelILj256ELj16E21rocsparse_complex_numIdEEEvi20rocsparse_direction_NS_24const_host_device_scalarIT1_EEPKiS8_PKS5_iiSA_S6_PS5_21rocsparse_index_base_b: ; @_ZN9rocsparseL23gebsrmvn_general_kernelILj256ELj16E21rocsparse_complex_numIdEEEvi20rocsparse_direction_NS_24const_host_device_scalarIT1_EEPKiS8_PKS5_iiSA_S6_PS5_21rocsparse_index_base_b
; %bb.0:
	s_clause 0x1
	s_load_b64 s[8:9], s[0:1], 0x58
	s_load_b64 s[2:3], s[0:1], 0x8
	v_mov_b32_e32 v1, 0
	s_add_nc_u64 s[4:5], s[0:1], 8
	s_load_b64 s[6:7], s[0:1], 0x40
	s_wait_kmcnt 0x0
	s_bitcmp1_b32 s9, 0
	s_cselect_b32 s3, s5, s3
	s_cselect_b32 s2, s4, s2
	flat_load_b128 v[2:5], v1, s[2:3]
	s_wait_xcnt 0x0
	s_add_nc_u64 s[2:3], s[0:1], 64
	s_delay_alu instid0(SALU_CYCLE_1)
	s_cselect_b32 s3, s3, s7
	s_cselect_b32 s2, s2, s6
	flat_load_b128 v[6:9], v1, s[2:3]
	s_wait_loadcnt_dscnt 0x101
	v_cmp_eq_f64_e32 vcc_lo, 0, v[2:3]
	s_wait_xcnt 0x0
	v_cmp_eq_f64_e64 s2, 0, v[4:5]
	s_and_b32 s4, vcc_lo, s2
	s_mov_b32 s2, -1
	s_and_saveexec_b32 s3, s4
	s_cbranch_execz .LBB110_2
; %bb.1:
	s_wait_loadcnt_dscnt 0x0
	v_cmp_neq_f64_e32 vcc_lo, 1.0, v[6:7]
	v_cmp_neq_f64_e64 s2, 0, v[8:9]
	s_or_b32 s2, vcc_lo, s2
	s_delay_alu instid0(SALU_CYCLE_1)
	s_or_not1_b32 s2, s2, exec_lo
.LBB110_2:
	s_or_b32 exec_lo, exec_lo, s3
	s_and_saveexec_b32 s3, s2
	s_cbranch_execz .LBB110_22
; %bb.3:
	s_load_b64 s[10:11], s[0:1], 0x30
	v_lshrrev_b32_e32 v16, 4, v0
	s_wait_kmcnt 0x0
	s_delay_alu instid0(VALU_DEP_1)
	v_cmp_gt_i32_e32 vcc_lo, s10, v16
	s_and_b32 exec_lo, exec_lo, vcc_lo
	s_cbranch_execz .LBB110_22
; %bb.4:
	s_clause 0x1
	s_load_b128 s[4:7], s[0:1], 0x18
	s_load_b32 s20, s[0:1], 0x4
	s_bfe_u32 s2, ttmp6, 0x4000c
	s_and_b32 s3, ttmp6, 15
	s_add_co_i32 s2, s2, 1
	s_getreg_b32 s9, hwreg(HW_REG_IB_STS2, 6, 4)
	s_mul_i32 s2, ttmp9, s2
	v_and_b32_e32 v17, 15, v0
	s_add_co_i32 s3, s3, s2
	s_cmp_eq_u32 s9, 0
	v_mbcnt_lo_u32_b32 v0, -1, 0
	s_cselect_b32 s22, ttmp9, s3
	s_wait_loadcnt_dscnt 0x0
	v_cmp_eq_f64_e32 vcc_lo, 0, v[6:7]
	s_ashr_i32 s23, s22, 31
	s_mov_b32 s9, 0
	s_lshl_b64 s[2:3], s[22:23], 2
	v_xor_b32_e32 v13, 1, v0
	v_xor_b32_e32 v11, 2, v0
	;; [unrolled: 1-line block ×4, first 2 shown]
	s_wait_kmcnt 0x0
	s_add_nc_u64 s[2:3], s[4:5], s[2:3]
	s_mul_i32 s21, s10, s22
	s_load_b64 s[18:19], s[2:3], 0x0
	s_wait_xcnt 0x0
	v_cmp_eq_f64_e64 s2, 0, v[8:9]
	s_clause 0x2
	s_load_b64 s[4:5], s[0:1], 0x50
	s_load_b64 s[12:13], s[0:1], 0x28
	;; [unrolled: 1-line block ×3, first 2 shown]
	s_wait_xcnt 0x0
	v_cmp_gt_i32_e64 s1, 32, v1
	s_mul_i32 s23, s11, s10
	v_cndmask_b32_e64 v1, v0, v1, s1
	v_cmp_gt_i32_e64 s1, 32, v10
	v_cmp_gt_i32_e64 s0, s11, v17
	s_delay_alu instid0(VALU_DEP_2) | instskip(SKIP_1) | instid1(VALU_DEP_1)
	v_dual_lshlrev_b32 v18, 2, v1 :: v_dual_cndmask_b32 v10, v0, v10, s1
	v_cmp_gt_i32_e64 s1, 32, v11
	v_cndmask_b32_e64 v11, v0, v11, s1
	s_wait_kmcnt 0x0
	s_sub_co_i32 s16, s18, s8
	v_cmp_gt_i32_e64 s1, 32, v13
	v_mad_u32 v12, s10, s16, v16
	s_sub_co_i32 s17, s19, s8
	s_cmp_lt_i32 s18, s19
	v_dual_lshlrev_b32 v20, 2, v10 :: v_dual_lshlrev_b32 v21, 2, v11
	v_cndmask_b32_e64 v0, v0, v13, s1
	v_cmp_eq_u32_e64 s1, 15, v17
	s_cselect_b32 s18, -1, 0
	s_cmp_lg_u32 s20, 0
	v_lshlrev_b32_e32 v22, 2, v0
	v_mul_lo_u32 v19, s11, v12
	s_cselect_b32 s19, -1, 0
	s_and_b32 s20, vcc_lo, s2
	s_lshl_b32 s22, s11, 4
	s_branch .LBB110_6
.LBB110_5:                              ;   in Loop: Header=BB110_6 Depth=1
	s_wait_xcnt 0x0
	s_or_b32 exec_lo, exec_lo, s2
	v_dual_add_nc_u32 v16, 16, v16 :: v_dual_add_nc_u32 v19, s22, v19
	s_delay_alu instid0(VALU_DEP_1) | instskip(SKIP_1) | instid1(SALU_CYCLE_1)
	v_cmp_le_i32_e32 vcc_lo, s10, v16
	s_or_b32 s9, vcc_lo, s9
	s_and_not1_b32 exec_lo, exec_lo, s9
	s_cbranch_execz .LBB110_22
.LBB110_6:                              ; =>This Loop Header: Depth=1
                                        ;     Child Loop BB110_10 Depth 2
                                        ;       Child Loop BB110_13 Depth 3
	v_mov_b64_e32 v[0:1], 0
	v_mov_b64_e32 v[10:11], 0
	s_and_not1_b32 vcc_lo, exec_lo, s18
	s_cbranch_vccnz .LBB110_17
; %bb.7:                                ;   in Loop: Header=BB110_6 Depth=1
	v_mov_b64_e32 v[0:1], 0
	v_mov_b64_e32 v[10:11], 0
	s_wait_dscnt 0x3
	v_mov_b32_e32 v12, v19
	s_mov_b32 s2, s16
	s_branch .LBB110_10
.LBB110_8:                              ;   in Loop: Header=BB110_10 Depth=2
	s_or_b32 exec_lo, exec_lo, s25
.LBB110_9:                              ;   in Loop: Header=BB110_10 Depth=2
	s_delay_alu instid0(SALU_CYCLE_1) | instskip(SKIP_2) | instid1(SALU_CYCLE_1)
	s_or_b32 exec_lo, exec_lo, s24
	v_add_nc_u32_e32 v12, s23, v12
	s_add_co_i32 s2, s2, 1
	s_cmp_ge_i32 s2, s17
	s_cbranch_scc1 .LBB110_17
.LBB110_10:                             ;   Parent Loop BB110_6 Depth=1
                                        ; =>  This Loop Header: Depth=2
                                        ;       Child Loop BB110_13 Depth 3
	s_and_saveexec_b32 s24, s0
	s_cbranch_execz .LBB110_9
; %bb.11:                               ;   in Loop: Header=BB110_10 Depth=2
	s_ashr_i32 s3, s2, 31
	s_wait_dscnt 0x2
	v_mov_b32_e32 v13, v17
	s_lshl_b64 s[26:27], s[2:3], 2
	s_mov_b32 s25, 0
	s_add_nc_u64 s[26:27], s[6:7], s[26:27]
	s_load_b32 s3, s[26:27], 0x0
	s_wait_kmcnt 0x0
	s_wait_xcnt 0x0
	s_sub_co_i32 s26, s3, s8
	s_mul_i32 s3, s2, s11
	s_mul_i32 s26, s26, s11
	s_branch .LBB110_13
.LBB110_12:                             ;   in Loop: Header=BB110_13 Depth=3
	s_wait_dscnt 0x0
	v_dual_add_nc_u32 v15, s26, v13 :: v_dual_add_nc_u32 v13, 16, v13
	global_load_b128 v[24:27], v14, s[12:13] scale_offset
	global_load_b128 v[28:31], v15, s[14:15] scale_offset
	v_cmp_le_i32_e32 vcc_lo, s11, v13
	s_or_b32 s25, vcc_lo, s25
	s_wait_loadcnt 0x0
	v_fmac_f64_e32 v[10:11], v[24:25], v[28:29]
	v_fmac_f64_e32 v[0:1], v[26:27], v[28:29]
	s_delay_alu instid0(VALU_DEP_2) | instskip(NEXT) | instid1(VALU_DEP_2)
	v_fma_f64 v[10:11], -v[26:27], v[30:31], v[10:11]
	v_fmac_f64_e32 v[0:1], v[24:25], v[30:31]
	s_wait_xcnt 0x0
	s_and_not1_b32 exec_lo, exec_lo, s25
	s_cbranch_execz .LBB110_8
.LBB110_13:                             ;   Parent Loop BB110_6 Depth=1
                                        ;     Parent Loop BB110_10 Depth=2
                                        ; =>    This Inner Loop Header: Depth=3
	s_and_b32 vcc_lo, exec_lo, s19
	s_cbranch_vccz .LBB110_15
; %bb.14:                               ;   in Loop: Header=BB110_13 Depth=3
	s_wait_dscnt 0x1
	v_add_nc_u32_e32 v14, s3, v13
	s_delay_alu instid0(VALU_DEP_1)
	v_mad_u32 v14, v14, s10, v16
	s_cbranch_execnz .LBB110_12
	s_branch .LBB110_16
.LBB110_15:                             ;   in Loop: Header=BB110_13 Depth=3
                                        ; implicit-def: $vgpr14
.LBB110_16:                             ;   in Loop: Header=BB110_13 Depth=3
	s_wait_dscnt 0x1
	v_add_nc_u32_e32 v14, v12, v13
	s_branch .LBB110_12
.LBB110_17:                             ;   in Loop: Header=BB110_6 Depth=1
	s_wait_dscnt 0x3
	ds_bpermute_b32 v12, v18, v10
	s_wait_dscnt 0x3
	ds_bpermute_b32 v13, v18, v11
	;; [unrolled: 2-line block ×4, first 2 shown]
	s_wait_dscnt 0x2
	v_add_f64_e32 v[10:11], v[10:11], v[12:13]
	s_wait_dscnt 0x0
	v_add_f64_e32 v[0:1], v[0:1], v[14:15]
	ds_bpermute_b32 v12, v20, v10
	ds_bpermute_b32 v13, v20, v11
	ds_bpermute_b32 v14, v20, v0
	ds_bpermute_b32 v15, v20, v1
	s_wait_dscnt 0x2
	v_add_f64_e32 v[10:11], v[10:11], v[12:13]
	s_wait_dscnt 0x0
	v_add_f64_e32 v[12:13], v[0:1], v[14:15]
	ds_bpermute_b32 v0, v21, v10
	ds_bpermute_b32 v1, v21, v11
	ds_bpermute_b32 v14, v21, v12
	ds_bpermute_b32 v15, v21, v13
	;; [unrolled: 8-line block ×3, first 2 shown]
	s_and_saveexec_b32 s2, s1
	s_cbranch_execz .LBB110_5
; %bb.18:                               ;   in Loop: Header=BB110_6 Depth=1
	s_wait_dscnt 0x0
	v_add_f64_e32 v[14:15], v[10:11], v[14:15]
	v_add_f64_e32 v[0:1], v[0:1], v[12:13]
	s_delay_alu instid0(VALU_DEP_2) | instskip(SKIP_1) | instid1(VALU_DEP_2)
	v_mul_f64_e64 v[10:11], v[14:15], -v[4:5]
	v_mul_f64_e32 v[12:13], v[2:3], v[14:15]
	v_fmac_f64_e32 v[10:11], v[2:3], v[0:1]
	s_delay_alu instid0(VALU_DEP_2) | instskip(SKIP_2) | instid1(SALU_CYCLE_1)
	v_fmac_f64_e32 v[12:13], v[4:5], v[0:1]
	v_add_nc_u32_e32 v0, s21, v16
	s_and_saveexec_b32 s3, s20
	s_xor_b32 s3, exec_lo, s3
	s_cbranch_execz .LBB110_20
; %bb.19:                               ;   in Loop: Header=BB110_6 Depth=1
	global_store_b128 v0, v[10:13], s[4:5] scale_offset
                                        ; implicit-def: $vgpr0
                                        ; implicit-def: $vgpr10_vgpr11
.LBB110_20:                             ;   in Loop: Header=BB110_6 Depth=1
	s_wait_xcnt 0x0
	s_and_not1_saveexec_b32 s3, s3
	s_cbranch_execz .LBB110_5
; %bb.21:                               ;   in Loop: Header=BB110_6 Depth=1
	global_load_b128 v[24:27], v0, s[4:5] scale_offset
	s_wait_loadcnt 0x0
	v_fmac_f64_e32 v[10:11], v[6:7], v[24:25]
	v_fmac_f64_e32 v[12:13], v[8:9], v[24:25]
	s_delay_alu instid0(VALU_DEP_2) | instskip(NEXT) | instid1(VALU_DEP_2)
	v_fma_f64 v[10:11], -v[8:9], v[26:27], v[10:11]
	v_fmac_f64_e32 v[12:13], v[6:7], v[26:27]
	global_store_b128 v0, v[10:13], s[4:5] scale_offset
	s_branch .LBB110_5
.LBB110_22:
	s_endpgm
	.section	.rodata,"a",@progbits
	.p2align	6, 0x0
	.amdhsa_kernel _ZN9rocsparseL23gebsrmvn_general_kernelILj256ELj16E21rocsparse_complex_numIdEEEvi20rocsparse_direction_NS_24const_host_device_scalarIT1_EEPKiS8_PKS5_iiSA_S6_PS5_21rocsparse_index_base_b
		.amdhsa_group_segment_fixed_size 0
		.amdhsa_private_segment_fixed_size 0
		.amdhsa_kernarg_size 96
		.amdhsa_user_sgpr_count 2
		.amdhsa_user_sgpr_dispatch_ptr 0
		.amdhsa_user_sgpr_queue_ptr 0
		.amdhsa_user_sgpr_kernarg_segment_ptr 1
		.amdhsa_user_sgpr_dispatch_id 0
		.amdhsa_user_sgpr_kernarg_preload_length 0
		.amdhsa_user_sgpr_kernarg_preload_offset 0
		.amdhsa_user_sgpr_private_segment_size 0
		.amdhsa_wavefront_size32 1
		.amdhsa_uses_dynamic_stack 0
		.amdhsa_enable_private_segment 0
		.amdhsa_system_sgpr_workgroup_id_x 1
		.amdhsa_system_sgpr_workgroup_id_y 0
		.amdhsa_system_sgpr_workgroup_id_z 0
		.amdhsa_system_sgpr_workgroup_info 0
		.amdhsa_system_vgpr_workitem_id 0
		.amdhsa_next_free_vgpr 32
		.amdhsa_next_free_sgpr 28
		.amdhsa_named_barrier_count 0
		.amdhsa_reserve_vcc 1
		.amdhsa_float_round_mode_32 0
		.amdhsa_float_round_mode_16_64 0
		.amdhsa_float_denorm_mode_32 3
		.amdhsa_float_denorm_mode_16_64 3
		.amdhsa_fp16_overflow 0
		.amdhsa_memory_ordered 1
		.amdhsa_forward_progress 1
		.amdhsa_inst_pref_size 10
		.amdhsa_round_robin_scheduling 0
		.amdhsa_exception_fp_ieee_invalid_op 0
		.amdhsa_exception_fp_denorm_src 0
		.amdhsa_exception_fp_ieee_div_zero 0
		.amdhsa_exception_fp_ieee_overflow 0
		.amdhsa_exception_fp_ieee_underflow 0
		.amdhsa_exception_fp_ieee_inexact 0
		.amdhsa_exception_int_div_zero 0
	.end_amdhsa_kernel
	.section	.text._ZN9rocsparseL23gebsrmvn_general_kernelILj256ELj16E21rocsparse_complex_numIdEEEvi20rocsparse_direction_NS_24const_host_device_scalarIT1_EEPKiS8_PKS5_iiSA_S6_PS5_21rocsparse_index_base_b,"axG",@progbits,_ZN9rocsparseL23gebsrmvn_general_kernelILj256ELj16E21rocsparse_complex_numIdEEEvi20rocsparse_direction_NS_24const_host_device_scalarIT1_EEPKiS8_PKS5_iiSA_S6_PS5_21rocsparse_index_base_b,comdat
.Lfunc_end110:
	.size	_ZN9rocsparseL23gebsrmvn_general_kernelILj256ELj16E21rocsparse_complex_numIdEEEvi20rocsparse_direction_NS_24const_host_device_scalarIT1_EEPKiS8_PKS5_iiSA_S6_PS5_21rocsparse_index_base_b, .Lfunc_end110-_ZN9rocsparseL23gebsrmvn_general_kernelILj256ELj16E21rocsparse_complex_numIdEEEvi20rocsparse_direction_NS_24const_host_device_scalarIT1_EEPKiS8_PKS5_iiSA_S6_PS5_21rocsparse_index_base_b
                                        ; -- End function
	.set _ZN9rocsparseL23gebsrmvn_general_kernelILj256ELj16E21rocsparse_complex_numIdEEEvi20rocsparse_direction_NS_24const_host_device_scalarIT1_EEPKiS8_PKS5_iiSA_S6_PS5_21rocsparse_index_base_b.num_vgpr, 32
	.set _ZN9rocsparseL23gebsrmvn_general_kernelILj256ELj16E21rocsparse_complex_numIdEEEvi20rocsparse_direction_NS_24const_host_device_scalarIT1_EEPKiS8_PKS5_iiSA_S6_PS5_21rocsparse_index_base_b.num_agpr, 0
	.set _ZN9rocsparseL23gebsrmvn_general_kernelILj256ELj16E21rocsparse_complex_numIdEEEvi20rocsparse_direction_NS_24const_host_device_scalarIT1_EEPKiS8_PKS5_iiSA_S6_PS5_21rocsparse_index_base_b.numbered_sgpr, 28
	.set _ZN9rocsparseL23gebsrmvn_general_kernelILj256ELj16E21rocsparse_complex_numIdEEEvi20rocsparse_direction_NS_24const_host_device_scalarIT1_EEPKiS8_PKS5_iiSA_S6_PS5_21rocsparse_index_base_b.num_named_barrier, 0
	.set _ZN9rocsparseL23gebsrmvn_general_kernelILj256ELj16E21rocsparse_complex_numIdEEEvi20rocsparse_direction_NS_24const_host_device_scalarIT1_EEPKiS8_PKS5_iiSA_S6_PS5_21rocsparse_index_base_b.private_seg_size, 0
	.set _ZN9rocsparseL23gebsrmvn_general_kernelILj256ELj16E21rocsparse_complex_numIdEEEvi20rocsparse_direction_NS_24const_host_device_scalarIT1_EEPKiS8_PKS5_iiSA_S6_PS5_21rocsparse_index_base_b.uses_vcc, 1
	.set _ZN9rocsparseL23gebsrmvn_general_kernelILj256ELj16E21rocsparse_complex_numIdEEEvi20rocsparse_direction_NS_24const_host_device_scalarIT1_EEPKiS8_PKS5_iiSA_S6_PS5_21rocsparse_index_base_b.uses_flat_scratch, 0
	.set _ZN9rocsparseL23gebsrmvn_general_kernelILj256ELj16E21rocsparse_complex_numIdEEEvi20rocsparse_direction_NS_24const_host_device_scalarIT1_EEPKiS8_PKS5_iiSA_S6_PS5_21rocsparse_index_base_b.has_dyn_sized_stack, 0
	.set _ZN9rocsparseL23gebsrmvn_general_kernelILj256ELj16E21rocsparse_complex_numIdEEEvi20rocsparse_direction_NS_24const_host_device_scalarIT1_EEPKiS8_PKS5_iiSA_S6_PS5_21rocsparse_index_base_b.has_recursion, 0
	.set _ZN9rocsparseL23gebsrmvn_general_kernelILj256ELj16E21rocsparse_complex_numIdEEEvi20rocsparse_direction_NS_24const_host_device_scalarIT1_EEPKiS8_PKS5_iiSA_S6_PS5_21rocsparse_index_base_b.has_indirect_call, 0
	.section	.AMDGPU.csdata,"",@progbits
; Kernel info:
; codeLenInByte = 1184
; TotalNumSgprs: 30
; NumVgprs: 32
; ScratchSize: 0
; MemoryBound: 0
; FloatMode: 240
; IeeeMode: 1
; LDSByteSize: 0 bytes/workgroup (compile time only)
; SGPRBlocks: 0
; VGPRBlocks: 1
; NumSGPRsForWavesPerEU: 30
; NumVGPRsForWavesPerEU: 32
; NamedBarCnt: 0
; Occupancy: 16
; WaveLimiterHint : 1
; COMPUTE_PGM_RSRC2:SCRATCH_EN: 0
; COMPUTE_PGM_RSRC2:USER_SGPR: 2
; COMPUTE_PGM_RSRC2:TRAP_HANDLER: 0
; COMPUTE_PGM_RSRC2:TGID_X_EN: 1
; COMPUTE_PGM_RSRC2:TGID_Y_EN: 0
; COMPUTE_PGM_RSRC2:TGID_Z_EN: 0
; COMPUTE_PGM_RSRC2:TIDIG_COMP_CNT: 0
	.section	.text._ZN9rocsparseL23gebsrmvn_general_kernelILj512ELj32E21rocsparse_complex_numIdEEEvi20rocsparse_direction_NS_24const_host_device_scalarIT1_EEPKiS8_PKS5_iiSA_S6_PS5_21rocsparse_index_base_b,"axG",@progbits,_ZN9rocsparseL23gebsrmvn_general_kernelILj512ELj32E21rocsparse_complex_numIdEEEvi20rocsparse_direction_NS_24const_host_device_scalarIT1_EEPKiS8_PKS5_iiSA_S6_PS5_21rocsparse_index_base_b,comdat
	.globl	_ZN9rocsparseL23gebsrmvn_general_kernelILj512ELj32E21rocsparse_complex_numIdEEEvi20rocsparse_direction_NS_24const_host_device_scalarIT1_EEPKiS8_PKS5_iiSA_S6_PS5_21rocsparse_index_base_b ; -- Begin function _ZN9rocsparseL23gebsrmvn_general_kernelILj512ELj32E21rocsparse_complex_numIdEEEvi20rocsparse_direction_NS_24const_host_device_scalarIT1_EEPKiS8_PKS5_iiSA_S6_PS5_21rocsparse_index_base_b
	.p2align	8
	.type	_ZN9rocsparseL23gebsrmvn_general_kernelILj512ELj32E21rocsparse_complex_numIdEEEvi20rocsparse_direction_NS_24const_host_device_scalarIT1_EEPKiS8_PKS5_iiSA_S6_PS5_21rocsparse_index_base_b,@function
_ZN9rocsparseL23gebsrmvn_general_kernelILj512ELj32E21rocsparse_complex_numIdEEEvi20rocsparse_direction_NS_24const_host_device_scalarIT1_EEPKiS8_PKS5_iiSA_S6_PS5_21rocsparse_index_base_b: ; @_ZN9rocsparseL23gebsrmvn_general_kernelILj512ELj32E21rocsparse_complex_numIdEEEvi20rocsparse_direction_NS_24const_host_device_scalarIT1_EEPKiS8_PKS5_iiSA_S6_PS5_21rocsparse_index_base_b
; %bb.0:
	s_clause 0x1
	s_load_b64 s[8:9], s[0:1], 0x58
	s_load_b64 s[2:3], s[0:1], 0x8
	v_mov_b32_e32 v1, 0
	s_add_nc_u64 s[4:5], s[0:1], 8
	s_load_b64 s[6:7], s[0:1], 0x40
	s_wait_kmcnt 0x0
	s_bitcmp1_b32 s9, 0
	s_cselect_b32 s3, s5, s3
	s_cselect_b32 s2, s4, s2
	flat_load_b128 v[2:5], v1, s[2:3]
	s_wait_xcnt 0x0
	s_add_nc_u64 s[2:3], s[0:1], 64
	s_delay_alu instid0(SALU_CYCLE_1)
	s_cselect_b32 s3, s3, s7
	s_cselect_b32 s2, s2, s6
	flat_load_b128 v[6:9], v1, s[2:3]
	s_wait_loadcnt_dscnt 0x101
	v_cmp_eq_f64_e32 vcc_lo, 0, v[2:3]
	s_wait_xcnt 0x0
	v_cmp_eq_f64_e64 s2, 0, v[4:5]
	s_and_b32 s4, vcc_lo, s2
	s_mov_b32 s2, -1
	s_and_saveexec_b32 s3, s4
	s_cbranch_execz .LBB111_2
; %bb.1:
	s_wait_loadcnt_dscnt 0x0
	v_cmp_neq_f64_e32 vcc_lo, 1.0, v[6:7]
	v_cmp_neq_f64_e64 s2, 0, v[8:9]
	s_or_b32 s2, vcc_lo, s2
	s_delay_alu instid0(SALU_CYCLE_1)
	s_or_not1_b32 s2, s2, exec_lo
.LBB111_2:
	s_or_b32 exec_lo, exec_lo, s3
	s_and_saveexec_b32 s3, s2
	s_cbranch_execz .LBB111_22
; %bb.3:
	s_load_b64 s[10:11], s[0:1], 0x30
	v_lshrrev_b32_e32 v16, 5, v0
	s_wait_kmcnt 0x0
	s_delay_alu instid0(VALU_DEP_1)
	v_cmp_gt_i32_e32 vcc_lo, s10, v16
	s_and_b32 exec_lo, exec_lo, vcc_lo
	s_cbranch_execz .LBB111_22
; %bb.4:
	s_clause 0x1
	s_load_b128 s[4:7], s[0:1], 0x18
	s_load_b32 s20, s[0:1], 0x4
	s_bfe_u32 s2, ttmp6, 0x4000c
	s_and_b32 s3, ttmp6, 15
	s_add_co_i32 s2, s2, 1
	s_getreg_b32 s9, hwreg(HW_REG_IB_STS2, 6, 4)
	s_mul_i32 s2, ttmp9, s2
	v_mbcnt_lo_u32_b32 v1, -1, 0
	s_add_co_i32 s3, s3, s2
	s_cmp_eq_u32 s9, 0
	v_and_b32_e32 v17, 31, v0
	s_cselect_b32 s22, ttmp9, s3
	v_xor_b32_e32 v10, 8, v1
	s_ashr_i32 s23, s22, 31
	v_xor_b32_e32 v0, 16, v1
	s_lshl_b64 s[2:3], s[22:23], 2
	s_wait_loadcnt_dscnt 0x0
	v_cmp_eq_f64_e32 vcc_lo, 0, v[6:7]
	v_xor_b32_e32 v12, 2, v1
	v_xor_b32_e32 v11, 4, v1
	s_mov_b32 s9, 0
	s_wait_kmcnt 0x0
	s_add_nc_u64 s[2:3], s[4:5], s[2:3]
	s_mul_i32 s21, s10, s22
	s_load_b64 s[18:19], s[2:3], 0x0
	s_clause 0x2
	s_load_b64 s[4:5], s[0:1], 0x50
	s_load_b64 s[12:13], s[0:1], 0x28
	;; [unrolled: 1-line block ×3, first 2 shown]
	s_wait_xcnt 0x0
	v_cmp_gt_i32_e64 s1, 32, v0
	v_cmp_eq_f64_e64 s2, 0, v[8:9]
	s_mul_i32 s23, s11, s10
	v_cndmask_b32_e64 v0, v1, v0, s1
	v_cmp_gt_i32_e64 s0, s11, v17
	s_delay_alu instid0(VALU_DEP_2) | instskip(SKIP_1) | instid1(VALU_DEP_1)
	v_lshlrev_b32_e32 v18, 2, v0
	v_cmp_gt_i32_e64 s1, 32, v10
	v_cndmask_b32_e64 v10, v1, v10, s1
	v_cmp_gt_i32_e64 s1, 32, v11
	s_wait_kmcnt 0x0
	s_sub_co_i32 s16, s18, s8
	v_xor_b32_e32 v0, 1, v1
	v_mad_u32 v13, s10, s16, v16
	v_dual_lshlrev_b32 v19, 2, v10 :: v_dual_cndmask_b32 v11, v1, v11, s1
	v_cmp_gt_i32_e64 s1, 32, v12
	s_sub_co_i32 s17, s19, s8
	s_cmp_lt_i32 s18, s19
	s_cselect_b32 s18, -1, 0
	v_cndmask_b32_e64 v12, v1, v12, s1
	v_cmp_gt_i32_e64 s1, 32, v0
	v_lshlrev_b32_e32 v21, 2, v11
	v_mul_lo_u32 v20, s11, v13
	s_cmp_lg_u32 s20, 0
	v_lshlrev_b32_e32 v22, 2, v12
	v_cndmask_b32_e64 v0, v1, v0, s1
	v_cmp_eq_u32_e64 s1, 31, v17
	s_cselect_b32 s19, -1, 0
	s_and_b32 s20, vcc_lo, s2
	s_lshl_b32 s22, s11, 4
	v_lshlrev_b32_e32 v23, 2, v0
	s_branch .LBB111_6
.LBB111_5:                              ;   in Loop: Header=BB111_6 Depth=1
	s_wait_xcnt 0x0
	s_or_b32 exec_lo, exec_lo, s2
	v_add_nc_u32_e32 v16, 16, v16
	v_add_nc_u32_e32 v20, s22, v20
	s_delay_alu instid0(VALU_DEP_2) | instskip(SKIP_1) | instid1(SALU_CYCLE_1)
	v_cmp_le_i32_e32 vcc_lo, s10, v16
	s_or_b32 s9, vcc_lo, s9
	s_and_not1_b32 exec_lo, exec_lo, s9
	s_cbranch_execz .LBB111_22
.LBB111_6:                              ; =>This Loop Header: Depth=1
                                        ;     Child Loop BB111_10 Depth 2
                                        ;       Child Loop BB111_13 Depth 3
	v_mov_b64_e32 v[0:1], 0
	v_mov_b64_e32 v[10:11], 0
	s_and_not1_b32 vcc_lo, exec_lo, s18
	s_cbranch_vccnz .LBB111_17
; %bb.7:                                ;   in Loop: Header=BB111_6 Depth=1
	v_mov_b64_e32 v[0:1], 0
	v_mov_b64_e32 v[10:11], 0
	s_wait_dscnt 0x3
	v_mov_b32_e32 v12, v20
	s_mov_b32 s2, s16
	s_branch .LBB111_10
.LBB111_8:                              ;   in Loop: Header=BB111_10 Depth=2
	s_or_b32 exec_lo, exec_lo, s25
.LBB111_9:                              ;   in Loop: Header=BB111_10 Depth=2
	s_delay_alu instid0(SALU_CYCLE_1) | instskip(SKIP_2) | instid1(SALU_CYCLE_1)
	s_or_b32 exec_lo, exec_lo, s24
	v_add_nc_u32_e32 v12, s23, v12
	s_add_co_i32 s2, s2, 1
	s_cmp_ge_i32 s2, s17
	s_cbranch_scc1 .LBB111_17
.LBB111_10:                             ;   Parent Loop BB111_6 Depth=1
                                        ; =>  This Loop Header: Depth=2
                                        ;       Child Loop BB111_13 Depth 3
	s_and_saveexec_b32 s24, s0
	s_cbranch_execz .LBB111_9
; %bb.11:                               ;   in Loop: Header=BB111_10 Depth=2
	s_ashr_i32 s3, s2, 31
	s_wait_dscnt 0x2
	v_mov_b32_e32 v13, v17
	s_lshl_b64 s[26:27], s[2:3], 2
	s_mov_b32 s25, 0
	s_add_nc_u64 s[26:27], s[6:7], s[26:27]
	s_load_b32 s3, s[26:27], 0x0
	s_wait_kmcnt 0x0
	s_wait_xcnt 0x0
	s_sub_co_i32 s26, s3, s8
	s_mul_i32 s3, s2, s11
	s_mul_i32 s26, s26, s11
	s_branch .LBB111_13
.LBB111_12:                             ;   in Loop: Header=BB111_13 Depth=3
	s_wait_dscnt 0x0
	v_dual_add_nc_u32 v15, s26, v13 :: v_dual_add_nc_u32 v13, 32, v13
	global_load_b128 v[24:27], v14, s[12:13] scale_offset
	global_load_b128 v[28:31], v15, s[14:15] scale_offset
	v_cmp_le_i32_e32 vcc_lo, s11, v13
	s_or_b32 s25, vcc_lo, s25
	s_wait_loadcnt 0x0
	v_fmac_f64_e32 v[10:11], v[24:25], v[28:29]
	v_fmac_f64_e32 v[0:1], v[26:27], v[28:29]
	s_delay_alu instid0(VALU_DEP_2) | instskip(NEXT) | instid1(VALU_DEP_2)
	v_fma_f64 v[10:11], -v[26:27], v[30:31], v[10:11]
	v_fmac_f64_e32 v[0:1], v[24:25], v[30:31]
	s_wait_xcnt 0x0
	s_and_not1_b32 exec_lo, exec_lo, s25
	s_cbranch_execz .LBB111_8
.LBB111_13:                             ;   Parent Loop BB111_6 Depth=1
                                        ;     Parent Loop BB111_10 Depth=2
                                        ; =>    This Inner Loop Header: Depth=3
	s_and_b32 vcc_lo, exec_lo, s19
	s_cbranch_vccz .LBB111_15
; %bb.14:                               ;   in Loop: Header=BB111_13 Depth=3
	s_wait_dscnt 0x1
	v_add_nc_u32_e32 v14, s3, v13
	s_delay_alu instid0(VALU_DEP_1)
	v_mad_u32 v14, v14, s10, v16
	s_cbranch_execnz .LBB111_12
	s_branch .LBB111_16
.LBB111_15:                             ;   in Loop: Header=BB111_13 Depth=3
                                        ; implicit-def: $vgpr14
.LBB111_16:                             ;   in Loop: Header=BB111_13 Depth=3
	s_wait_dscnt 0x1
	v_add_nc_u32_e32 v14, v12, v13
	s_branch .LBB111_12
.LBB111_17:                             ;   in Loop: Header=BB111_6 Depth=1
	s_wait_dscnt 0x3
	ds_bpermute_b32 v12, v18, v10
	s_wait_dscnt 0x3
	ds_bpermute_b32 v13, v18, v11
	;; [unrolled: 2-line block ×4, first 2 shown]
	s_wait_dscnt 0x2
	v_add_f64_e32 v[10:11], v[10:11], v[12:13]
	s_wait_dscnt 0x0
	v_add_f64_e32 v[0:1], v[0:1], v[14:15]
	ds_bpermute_b32 v12, v19, v10
	ds_bpermute_b32 v13, v19, v11
	ds_bpermute_b32 v14, v19, v0
	ds_bpermute_b32 v15, v19, v1
	s_wait_dscnt 0x2
	v_add_f64_e32 v[10:11], v[10:11], v[12:13]
	s_wait_dscnt 0x0
	v_add_f64_e32 v[0:1], v[0:1], v[14:15]
	ds_bpermute_b32 v12, v21, v10
	ds_bpermute_b32 v13, v21, v11
	ds_bpermute_b32 v14, v21, v0
	ds_bpermute_b32 v15, v21, v1
	;; [unrolled: 8-line block ×4, first 2 shown]
	s_and_saveexec_b32 s2, s1
	s_cbranch_execz .LBB111_5
; %bb.18:                               ;   in Loop: Header=BB111_6 Depth=1
	s_wait_dscnt 0x0
	v_add_f64_e32 v[14:15], v[10:11], v[14:15]
	v_add_f64_e32 v[0:1], v[0:1], v[12:13]
	s_delay_alu instid0(VALU_DEP_2) | instskip(SKIP_1) | instid1(VALU_DEP_2)
	v_mul_f64_e64 v[10:11], v[14:15], -v[4:5]
	v_mul_f64_e32 v[12:13], v[2:3], v[14:15]
	v_fmac_f64_e32 v[10:11], v[2:3], v[0:1]
	s_delay_alu instid0(VALU_DEP_2) | instskip(SKIP_2) | instid1(SALU_CYCLE_1)
	v_fmac_f64_e32 v[12:13], v[4:5], v[0:1]
	v_add_nc_u32_e32 v0, s21, v16
	s_and_saveexec_b32 s3, s20
	s_xor_b32 s3, exec_lo, s3
	s_cbranch_execz .LBB111_20
; %bb.19:                               ;   in Loop: Header=BB111_6 Depth=1
	global_store_b128 v0, v[10:13], s[4:5] scale_offset
                                        ; implicit-def: $vgpr0
                                        ; implicit-def: $vgpr10_vgpr11
.LBB111_20:                             ;   in Loop: Header=BB111_6 Depth=1
	s_wait_xcnt 0x0
	s_and_not1_saveexec_b32 s3, s3
	s_cbranch_execz .LBB111_5
; %bb.21:                               ;   in Loop: Header=BB111_6 Depth=1
	global_load_b128 v[24:27], v0, s[4:5] scale_offset
	s_wait_loadcnt 0x0
	v_fmac_f64_e32 v[10:11], v[6:7], v[24:25]
	v_fmac_f64_e32 v[12:13], v[8:9], v[24:25]
	s_delay_alu instid0(VALU_DEP_2) | instskip(NEXT) | instid1(VALU_DEP_2)
	v_fma_f64 v[10:11], -v[8:9], v[26:27], v[10:11]
	v_fmac_f64_e32 v[12:13], v[6:7], v[26:27]
	global_store_b128 v0, v[10:13], s[4:5] scale_offset
	s_branch .LBB111_5
.LBB111_22:
	s_endpgm
	.section	.rodata,"a",@progbits
	.p2align	6, 0x0
	.amdhsa_kernel _ZN9rocsparseL23gebsrmvn_general_kernelILj512ELj32E21rocsparse_complex_numIdEEEvi20rocsparse_direction_NS_24const_host_device_scalarIT1_EEPKiS8_PKS5_iiSA_S6_PS5_21rocsparse_index_base_b
		.amdhsa_group_segment_fixed_size 0
		.amdhsa_private_segment_fixed_size 0
		.amdhsa_kernarg_size 96
		.amdhsa_user_sgpr_count 2
		.amdhsa_user_sgpr_dispatch_ptr 0
		.amdhsa_user_sgpr_queue_ptr 0
		.amdhsa_user_sgpr_kernarg_segment_ptr 1
		.amdhsa_user_sgpr_dispatch_id 0
		.amdhsa_user_sgpr_kernarg_preload_length 0
		.amdhsa_user_sgpr_kernarg_preload_offset 0
		.amdhsa_user_sgpr_private_segment_size 0
		.amdhsa_wavefront_size32 1
		.amdhsa_uses_dynamic_stack 0
		.amdhsa_enable_private_segment 0
		.amdhsa_system_sgpr_workgroup_id_x 1
		.amdhsa_system_sgpr_workgroup_id_y 0
		.amdhsa_system_sgpr_workgroup_id_z 0
		.amdhsa_system_sgpr_workgroup_info 0
		.amdhsa_system_vgpr_workitem_id 0
		.amdhsa_next_free_vgpr 32
		.amdhsa_next_free_sgpr 28
		.amdhsa_named_barrier_count 0
		.amdhsa_reserve_vcc 1
		.amdhsa_float_round_mode_32 0
		.amdhsa_float_round_mode_16_64 0
		.amdhsa_float_denorm_mode_32 3
		.amdhsa_float_denorm_mode_16_64 3
		.amdhsa_fp16_overflow 0
		.amdhsa_memory_ordered 1
		.amdhsa_forward_progress 1
		.amdhsa_inst_pref_size 10
		.amdhsa_round_robin_scheduling 0
		.amdhsa_exception_fp_ieee_invalid_op 0
		.amdhsa_exception_fp_denorm_src 0
		.amdhsa_exception_fp_ieee_div_zero 0
		.amdhsa_exception_fp_ieee_overflow 0
		.amdhsa_exception_fp_ieee_underflow 0
		.amdhsa_exception_fp_ieee_inexact 0
		.amdhsa_exception_int_div_zero 0
	.end_amdhsa_kernel
	.section	.text._ZN9rocsparseL23gebsrmvn_general_kernelILj512ELj32E21rocsparse_complex_numIdEEEvi20rocsparse_direction_NS_24const_host_device_scalarIT1_EEPKiS8_PKS5_iiSA_S6_PS5_21rocsparse_index_base_b,"axG",@progbits,_ZN9rocsparseL23gebsrmvn_general_kernelILj512ELj32E21rocsparse_complex_numIdEEEvi20rocsparse_direction_NS_24const_host_device_scalarIT1_EEPKiS8_PKS5_iiSA_S6_PS5_21rocsparse_index_base_b,comdat
.Lfunc_end111:
	.size	_ZN9rocsparseL23gebsrmvn_general_kernelILj512ELj32E21rocsparse_complex_numIdEEEvi20rocsparse_direction_NS_24const_host_device_scalarIT1_EEPKiS8_PKS5_iiSA_S6_PS5_21rocsparse_index_base_b, .Lfunc_end111-_ZN9rocsparseL23gebsrmvn_general_kernelILj512ELj32E21rocsparse_complex_numIdEEEvi20rocsparse_direction_NS_24const_host_device_scalarIT1_EEPKiS8_PKS5_iiSA_S6_PS5_21rocsparse_index_base_b
                                        ; -- End function
	.set _ZN9rocsparseL23gebsrmvn_general_kernelILj512ELj32E21rocsparse_complex_numIdEEEvi20rocsparse_direction_NS_24const_host_device_scalarIT1_EEPKiS8_PKS5_iiSA_S6_PS5_21rocsparse_index_base_b.num_vgpr, 32
	.set _ZN9rocsparseL23gebsrmvn_general_kernelILj512ELj32E21rocsparse_complex_numIdEEEvi20rocsparse_direction_NS_24const_host_device_scalarIT1_EEPKiS8_PKS5_iiSA_S6_PS5_21rocsparse_index_base_b.num_agpr, 0
	.set _ZN9rocsparseL23gebsrmvn_general_kernelILj512ELj32E21rocsparse_complex_numIdEEEvi20rocsparse_direction_NS_24const_host_device_scalarIT1_EEPKiS8_PKS5_iiSA_S6_PS5_21rocsparse_index_base_b.numbered_sgpr, 28
	.set _ZN9rocsparseL23gebsrmvn_general_kernelILj512ELj32E21rocsparse_complex_numIdEEEvi20rocsparse_direction_NS_24const_host_device_scalarIT1_EEPKiS8_PKS5_iiSA_S6_PS5_21rocsparse_index_base_b.num_named_barrier, 0
	.set _ZN9rocsparseL23gebsrmvn_general_kernelILj512ELj32E21rocsparse_complex_numIdEEEvi20rocsparse_direction_NS_24const_host_device_scalarIT1_EEPKiS8_PKS5_iiSA_S6_PS5_21rocsparse_index_base_b.private_seg_size, 0
	.set _ZN9rocsparseL23gebsrmvn_general_kernelILj512ELj32E21rocsparse_complex_numIdEEEvi20rocsparse_direction_NS_24const_host_device_scalarIT1_EEPKiS8_PKS5_iiSA_S6_PS5_21rocsparse_index_base_b.uses_vcc, 1
	.set _ZN9rocsparseL23gebsrmvn_general_kernelILj512ELj32E21rocsparse_complex_numIdEEEvi20rocsparse_direction_NS_24const_host_device_scalarIT1_EEPKiS8_PKS5_iiSA_S6_PS5_21rocsparse_index_base_b.uses_flat_scratch, 0
	.set _ZN9rocsparseL23gebsrmvn_general_kernelILj512ELj32E21rocsparse_complex_numIdEEEvi20rocsparse_direction_NS_24const_host_device_scalarIT1_EEPKiS8_PKS5_iiSA_S6_PS5_21rocsparse_index_base_b.has_dyn_sized_stack, 0
	.set _ZN9rocsparseL23gebsrmvn_general_kernelILj512ELj32E21rocsparse_complex_numIdEEEvi20rocsparse_direction_NS_24const_host_device_scalarIT1_EEPKiS8_PKS5_iiSA_S6_PS5_21rocsparse_index_base_b.has_recursion, 0
	.set _ZN9rocsparseL23gebsrmvn_general_kernelILj512ELj32E21rocsparse_complex_numIdEEEvi20rocsparse_direction_NS_24const_host_device_scalarIT1_EEPKiS8_PKS5_iiSA_S6_PS5_21rocsparse_index_base_b.has_indirect_call, 0
	.section	.AMDGPU.csdata,"",@progbits
; Kernel info:
; codeLenInByte = 1244
; TotalNumSgprs: 30
; NumVgprs: 32
; ScratchSize: 0
; MemoryBound: 0
; FloatMode: 240
; IeeeMode: 1
; LDSByteSize: 0 bytes/workgroup (compile time only)
; SGPRBlocks: 0
; VGPRBlocks: 1
; NumSGPRsForWavesPerEU: 30
; NumVGPRsForWavesPerEU: 32
; NamedBarCnt: 0
; Occupancy: 16
; WaveLimiterHint : 1
; COMPUTE_PGM_RSRC2:SCRATCH_EN: 0
; COMPUTE_PGM_RSRC2:USER_SGPR: 2
; COMPUTE_PGM_RSRC2:TRAP_HANDLER: 0
; COMPUTE_PGM_RSRC2:TGID_X_EN: 1
; COMPUTE_PGM_RSRC2:TGID_Y_EN: 0
; COMPUTE_PGM_RSRC2:TGID_Z_EN: 0
; COMPUTE_PGM_RSRC2:TIDIG_COMP_CNT: 0
	.section	.text._ZN9rocsparseL22gebsrmvn_mxn_16_kernelILj56ELj14ELj1E21rocsparse_complex_numIdEEEvi20rocsparse_direction_NS_24const_host_device_scalarIT2_EEPKiS8_PKS5_iiSA_S6_PS5_21rocsparse_index_base_b,"axG",@progbits,_ZN9rocsparseL22gebsrmvn_mxn_16_kernelILj56ELj14ELj1E21rocsparse_complex_numIdEEEvi20rocsparse_direction_NS_24const_host_device_scalarIT2_EEPKiS8_PKS5_iiSA_S6_PS5_21rocsparse_index_base_b,comdat
	.globl	_ZN9rocsparseL22gebsrmvn_mxn_16_kernelILj56ELj14ELj1E21rocsparse_complex_numIdEEEvi20rocsparse_direction_NS_24const_host_device_scalarIT2_EEPKiS8_PKS5_iiSA_S6_PS5_21rocsparse_index_base_b ; -- Begin function _ZN9rocsparseL22gebsrmvn_mxn_16_kernelILj56ELj14ELj1E21rocsparse_complex_numIdEEEvi20rocsparse_direction_NS_24const_host_device_scalarIT2_EEPKiS8_PKS5_iiSA_S6_PS5_21rocsparse_index_base_b
	.p2align	8
	.type	_ZN9rocsparseL22gebsrmvn_mxn_16_kernelILj56ELj14ELj1E21rocsparse_complex_numIdEEEvi20rocsparse_direction_NS_24const_host_device_scalarIT2_EEPKiS8_PKS5_iiSA_S6_PS5_21rocsparse_index_base_b,@function
_ZN9rocsparseL22gebsrmvn_mxn_16_kernelILj56ELj14ELj1E21rocsparse_complex_numIdEEEvi20rocsparse_direction_NS_24const_host_device_scalarIT2_EEPKiS8_PKS5_iiSA_S6_PS5_21rocsparse_index_base_b: ; @_ZN9rocsparseL22gebsrmvn_mxn_16_kernelILj56ELj14ELj1E21rocsparse_complex_numIdEEEvi20rocsparse_direction_NS_24const_host_device_scalarIT2_EEPKiS8_PKS5_iiSA_S6_PS5_21rocsparse_index_base_b
; %bb.0:
	s_clause 0x1
	s_load_b64 s[10:11], s[0:1], 0x58
	s_load_b64 s[2:3], s[0:1], 0x8
	v_mov_b32_e32 v1, 0
	s_add_nc_u64 s[4:5], s[0:1], 8
	s_load_b64 s[6:7], s[0:1], 0x40
	s_wait_kmcnt 0x0
	s_bitcmp1_b32 s11, 0
	s_cselect_b32 s3, s5, s3
	s_cselect_b32 s2, s4, s2
	flat_load_b128 v[6:9], v1, s[2:3]
	s_wait_xcnt 0x0
	s_add_nc_u64 s[2:3], s[0:1], 64
	s_delay_alu instid0(SALU_CYCLE_1)
	s_cselect_b32 s3, s3, s7
	s_cselect_b32 s2, s2, s6
	flat_load_b128 v[2:5], v1, s[2:3]
	s_wait_loadcnt_dscnt 0x101
	v_cmp_eq_f64_e32 vcc_lo, 0, v[6:7]
	s_wait_xcnt 0x0
	v_cmp_eq_f64_e64 s2, 0, v[8:9]
	s_and_b32 s4, vcc_lo, s2
	s_mov_b32 s2, -1
	s_and_saveexec_b32 s3, s4
	s_cbranch_execz .LBB112_2
; %bb.1:
	s_wait_loadcnt_dscnt 0x0
	v_cmp_neq_f64_e32 vcc_lo, 1.0, v[2:3]
	v_cmp_neq_f64_e64 s2, 0, v[4:5]
	s_or_b32 s2, vcc_lo, s2
	s_delay_alu instid0(SALU_CYCLE_1)
	s_or_not1_b32 s2, s2, exec_lo
.LBB112_2:
	s_or_b32 exec_lo, exec_lo, s3
	s_and_saveexec_b32 s3, s2
	s_cbranch_execz .LBB112_19
; %bb.3:
	s_load_b64 s[2:3], s[0:1], 0x18
	s_bfe_u32 s4, ttmp6, 0x4000c
	s_and_b32 s5, ttmp6, 15
	s_add_co_i32 s4, s4, 1
	s_getreg_b32 s6, hwreg(HW_REG_IB_STS2, 6, 4)
	s_mul_i32 s4, ttmp9, s4
	s_delay_alu instid0(SALU_CYCLE_1) | instskip(SKIP_2) | instid1(SALU_CYCLE_1)
	s_add_co_i32 s5, s5, s4
	s_cmp_eq_u32 s6, 0
	s_cselect_b32 s8, ttmp9, s5
	s_ashr_i32 s9, s8, 31
	s_delay_alu instid0(SALU_CYCLE_1)
	s_lshl_b64 s[4:5], s[8:9], 2
	s_wait_kmcnt 0x0
	s_add_nc_u64 s[2:3], s[2:3], s[4:5]
	s_mov_b32 s4, 0
	s_load_b64 s[14:15], s[2:3], 0x0
	s_wait_kmcnt 0x0
	s_cmp_lt_i32 s14, s15
	s_cbranch_scc0 .LBB112_5
; %bb.4:
	s_mov_b32 s4, -1
.LBB112_5:
	s_load_b64 s[2:3], s[0:1], 0x50
	v_mov_b64_e32 v[12:13], 0
	v_mov_b64_e32 v[10:11], 0
	s_and_not1_b32 vcc_lo, exec_lo, s4
	s_cbranch_vccnz .LBB112_10
; %bb.6:
	s_clause 0x1
	s_load_b128 s[4:7], s[0:1], 0x20
	s_load_b64 s[12:13], s[0:1], 0x38
	v_mad_u32 v10, s14, 14, v0
	v_mov_b64_e32 v[12:13], 0
	v_mul_u32_u24_e32 v1, 0x124a, v0
	s_wait_xcnt 0x0
	s_mul_i32 s0, s10, 14
	s_sub_co_i32 s1, s14, s10
	s_delay_alu instid0(VALU_DEP_1) | instskip(NEXT) | instid1(VALU_DEP_4)
	v_lshrrev_b32_e32 v1, 16, v1
	v_subrev_nc_u32_e32 v14, s0, v10
	v_mov_b64_e32 v[10:11], v[12:13]
	s_sub_co_i32 s0, s15, s10
	s_branch .LBB112_8
.LBB112_7:                              ;   in Loop: Header=BB112_8 Depth=1
	s_or_b32 exec_lo, exec_lo, s9
	v_add_nc_u32_e32 v14, 56, v14
	s_add_co_i32 s1, s1, 4
	s_delay_alu instid0(SALU_CYCLE_1)
	s_cmp_ge_i32 s1, s0
	s_cbranch_scc1 .LBB112_10
.LBB112_8:                              ; =>This Inner Loop Header: Depth=1
	v_add_nc_u32_e32 v15, s1, v1
	s_mov_b32 s9, exec_lo
	s_delay_alu instid0(VALU_DEP_1)
	v_cmpx_gt_i32_e64 s0, v15
	s_cbranch_execz .LBB112_7
; %bb.9:                                ;   in Loop: Header=BB112_8 Depth=1
	s_wait_kmcnt 0x0
	global_load_b32 v15, v15, s[4:5] scale_offset
	s_wait_loadcnt 0x0
	v_subrev_nc_u32_e32 v15, s10, v15
	global_load_b128 v[16:19], v14, s[6:7] scale_offset
	global_load_b128 v[20:23], v15, s[12:13] scale_offset
	s_wait_loadcnt 0x0
	v_fmac_f64_e32 v[10:11], v[16:17], v[20:21]
	v_fmac_f64_e32 v[12:13], v[18:19], v[20:21]
	s_delay_alu instid0(VALU_DEP_2) | instskip(NEXT) | instid1(VALU_DEP_2)
	v_fma_f64 v[10:11], -v[18:19], v[22:23], v[10:11]
	v_fmac_f64_e32 v[12:13], v[16:17], v[22:23]
	s_branch .LBB112_7
.LBB112_10:
	v_lshlrev_b32_e32 v1, 4, v0
	s_wait_xcnt 0x0
	s_mov_b32 s0, exec_lo
	ds_store_b128 v1, v[10:13]
	s_wait_loadcnt_dscnt 0x0
	s_barrier_signal -1
	s_barrier_wait -1
	v_cmpx_gt_u32_e32 28, v0
	s_cbranch_execz .LBB112_12
; %bb.11:
	ds_load_b128 v[10:13], v1 offset:448
	ds_load_b128 v[14:17], v1
	s_wait_dscnt 0x0
	v_add_f64_e32 v[10:11], v[10:11], v[14:15]
	v_add_f64_e32 v[12:13], v[12:13], v[16:17]
	ds_store_b128 v1, v[10:13]
.LBB112_12:
	s_or_b32 exec_lo, exec_lo, s0
	v_cmp_gt_u32_e32 vcc_lo, 14, v0
	s_wait_dscnt 0x0
	s_barrier_signal -1
	s_barrier_wait -1
	s_and_saveexec_b32 s0, vcc_lo
	s_cbranch_execz .LBB112_14
; %bb.13:
	ds_load_b128 v[10:13], v1 offset:224
	ds_load_b128 v[14:17], v1
	s_wait_dscnt 0x0
	v_add_f64_e32 v[10:11], v[10:11], v[14:15]
	v_add_f64_e32 v[12:13], v[12:13], v[16:17]
	ds_store_b128 v1, v[10:13]
.LBB112_14:
	s_or_b32 exec_lo, exec_lo, s0
	s_wait_dscnt 0x0
	s_barrier_signal -1
	s_barrier_wait -1
	s_and_b32 exec_lo, exec_lo, vcc_lo
	s_cbranch_execz .LBB112_19
; %bb.15:
	ds_load_b128 v[14:17], v1
	v_cmp_eq_f64_e32 vcc_lo, 0, v[2:3]
	v_cmp_eq_f64_e64 s0, 0, v[4:5]
	v_mad_u32 v0, s8, 14, v0
	s_wait_dscnt 0x0
	v_mul_f64_e64 v[10:11], v[16:17], -v[8:9]
	v_mul_f64_e32 v[12:13], v[6:7], v[16:17]
	s_and_b32 s0, vcc_lo, s0
	s_delay_alu instid0(VALU_DEP_2) | instskip(NEXT) | instid1(VALU_DEP_2)
	v_fmac_f64_e32 v[10:11], v[6:7], v[14:15]
	v_fmac_f64_e32 v[12:13], v[8:9], v[14:15]
	s_and_saveexec_b32 s1, s0
	s_delay_alu instid0(SALU_CYCLE_1)
	s_xor_b32 s0, exec_lo, s1
	s_cbranch_execz .LBB112_17
; %bb.16:
	s_wait_kmcnt 0x0
	global_store_b128 v0, v[10:13], s[2:3] scale_offset
                                        ; implicit-def: $vgpr0
                                        ; implicit-def: $vgpr2_vgpr3
                                        ; implicit-def: $vgpr10_vgpr11
.LBB112_17:
	s_wait_xcnt 0x0
	s_and_not1_saveexec_b32 s0, s0
	s_cbranch_execz .LBB112_19
; %bb.18:
	s_wait_kmcnt 0x0
	global_load_b128 v[6:9], v0, s[2:3] scale_offset
	s_wait_loadcnt 0x0
	v_fmac_f64_e32 v[10:11], v[2:3], v[6:7]
	v_fmac_f64_e32 v[12:13], v[4:5], v[6:7]
	s_delay_alu instid0(VALU_DEP_2) | instskip(NEXT) | instid1(VALU_DEP_2)
	v_fma_f64 v[10:11], -v[4:5], v[8:9], v[10:11]
	v_fmac_f64_e32 v[12:13], v[2:3], v[8:9]
	global_store_b128 v0, v[10:13], s[2:3] scale_offset
.LBB112_19:
	s_endpgm
	.section	.rodata,"a",@progbits
	.p2align	6, 0x0
	.amdhsa_kernel _ZN9rocsparseL22gebsrmvn_mxn_16_kernelILj56ELj14ELj1E21rocsparse_complex_numIdEEEvi20rocsparse_direction_NS_24const_host_device_scalarIT2_EEPKiS8_PKS5_iiSA_S6_PS5_21rocsparse_index_base_b
		.amdhsa_group_segment_fixed_size 896
		.amdhsa_private_segment_fixed_size 0
		.amdhsa_kernarg_size 96
		.amdhsa_user_sgpr_count 2
		.amdhsa_user_sgpr_dispatch_ptr 0
		.amdhsa_user_sgpr_queue_ptr 0
		.amdhsa_user_sgpr_kernarg_segment_ptr 1
		.amdhsa_user_sgpr_dispatch_id 0
		.amdhsa_user_sgpr_kernarg_preload_length 0
		.amdhsa_user_sgpr_kernarg_preload_offset 0
		.amdhsa_user_sgpr_private_segment_size 0
		.amdhsa_wavefront_size32 1
		.amdhsa_uses_dynamic_stack 0
		.amdhsa_enable_private_segment 0
		.amdhsa_system_sgpr_workgroup_id_x 1
		.amdhsa_system_sgpr_workgroup_id_y 0
		.amdhsa_system_sgpr_workgroup_id_z 0
		.amdhsa_system_sgpr_workgroup_info 0
		.amdhsa_system_vgpr_workitem_id 0
		.amdhsa_next_free_vgpr 24
		.amdhsa_next_free_sgpr 16
		.amdhsa_named_barrier_count 0
		.amdhsa_reserve_vcc 1
		.amdhsa_float_round_mode_32 0
		.amdhsa_float_round_mode_16_64 0
		.amdhsa_float_denorm_mode_32 3
		.amdhsa_float_denorm_mode_16_64 3
		.amdhsa_fp16_overflow 0
		.amdhsa_memory_ordered 1
		.amdhsa_forward_progress 1
		.amdhsa_inst_pref_size 7
		.amdhsa_round_robin_scheduling 0
		.amdhsa_exception_fp_ieee_invalid_op 0
		.amdhsa_exception_fp_denorm_src 0
		.amdhsa_exception_fp_ieee_div_zero 0
		.amdhsa_exception_fp_ieee_overflow 0
		.amdhsa_exception_fp_ieee_underflow 0
		.amdhsa_exception_fp_ieee_inexact 0
		.amdhsa_exception_int_div_zero 0
	.end_amdhsa_kernel
	.section	.text._ZN9rocsparseL22gebsrmvn_mxn_16_kernelILj56ELj14ELj1E21rocsparse_complex_numIdEEEvi20rocsparse_direction_NS_24const_host_device_scalarIT2_EEPKiS8_PKS5_iiSA_S6_PS5_21rocsparse_index_base_b,"axG",@progbits,_ZN9rocsparseL22gebsrmvn_mxn_16_kernelILj56ELj14ELj1E21rocsparse_complex_numIdEEEvi20rocsparse_direction_NS_24const_host_device_scalarIT2_EEPKiS8_PKS5_iiSA_S6_PS5_21rocsparse_index_base_b,comdat
.Lfunc_end112:
	.size	_ZN9rocsparseL22gebsrmvn_mxn_16_kernelILj56ELj14ELj1E21rocsparse_complex_numIdEEEvi20rocsparse_direction_NS_24const_host_device_scalarIT2_EEPKiS8_PKS5_iiSA_S6_PS5_21rocsparse_index_base_b, .Lfunc_end112-_ZN9rocsparseL22gebsrmvn_mxn_16_kernelILj56ELj14ELj1E21rocsparse_complex_numIdEEEvi20rocsparse_direction_NS_24const_host_device_scalarIT2_EEPKiS8_PKS5_iiSA_S6_PS5_21rocsparse_index_base_b
                                        ; -- End function
	.set _ZN9rocsparseL22gebsrmvn_mxn_16_kernelILj56ELj14ELj1E21rocsparse_complex_numIdEEEvi20rocsparse_direction_NS_24const_host_device_scalarIT2_EEPKiS8_PKS5_iiSA_S6_PS5_21rocsparse_index_base_b.num_vgpr, 24
	.set _ZN9rocsparseL22gebsrmvn_mxn_16_kernelILj56ELj14ELj1E21rocsparse_complex_numIdEEEvi20rocsparse_direction_NS_24const_host_device_scalarIT2_EEPKiS8_PKS5_iiSA_S6_PS5_21rocsparse_index_base_b.num_agpr, 0
	.set _ZN9rocsparseL22gebsrmvn_mxn_16_kernelILj56ELj14ELj1E21rocsparse_complex_numIdEEEvi20rocsparse_direction_NS_24const_host_device_scalarIT2_EEPKiS8_PKS5_iiSA_S6_PS5_21rocsparse_index_base_b.numbered_sgpr, 16
	.set _ZN9rocsparseL22gebsrmvn_mxn_16_kernelILj56ELj14ELj1E21rocsparse_complex_numIdEEEvi20rocsparse_direction_NS_24const_host_device_scalarIT2_EEPKiS8_PKS5_iiSA_S6_PS5_21rocsparse_index_base_b.num_named_barrier, 0
	.set _ZN9rocsparseL22gebsrmvn_mxn_16_kernelILj56ELj14ELj1E21rocsparse_complex_numIdEEEvi20rocsparse_direction_NS_24const_host_device_scalarIT2_EEPKiS8_PKS5_iiSA_S6_PS5_21rocsparse_index_base_b.private_seg_size, 0
	.set _ZN9rocsparseL22gebsrmvn_mxn_16_kernelILj56ELj14ELj1E21rocsparse_complex_numIdEEEvi20rocsparse_direction_NS_24const_host_device_scalarIT2_EEPKiS8_PKS5_iiSA_S6_PS5_21rocsparse_index_base_b.uses_vcc, 1
	.set _ZN9rocsparseL22gebsrmvn_mxn_16_kernelILj56ELj14ELj1E21rocsparse_complex_numIdEEEvi20rocsparse_direction_NS_24const_host_device_scalarIT2_EEPKiS8_PKS5_iiSA_S6_PS5_21rocsparse_index_base_b.uses_flat_scratch, 0
	.set _ZN9rocsparseL22gebsrmvn_mxn_16_kernelILj56ELj14ELj1E21rocsparse_complex_numIdEEEvi20rocsparse_direction_NS_24const_host_device_scalarIT2_EEPKiS8_PKS5_iiSA_S6_PS5_21rocsparse_index_base_b.has_dyn_sized_stack, 0
	.set _ZN9rocsparseL22gebsrmvn_mxn_16_kernelILj56ELj14ELj1E21rocsparse_complex_numIdEEEvi20rocsparse_direction_NS_24const_host_device_scalarIT2_EEPKiS8_PKS5_iiSA_S6_PS5_21rocsparse_index_base_b.has_recursion, 0
	.set _ZN9rocsparseL22gebsrmvn_mxn_16_kernelILj56ELj14ELj1E21rocsparse_complex_numIdEEEvi20rocsparse_direction_NS_24const_host_device_scalarIT2_EEPKiS8_PKS5_iiSA_S6_PS5_21rocsparse_index_base_b.has_indirect_call, 0
	.section	.AMDGPU.csdata,"",@progbits
; Kernel info:
; codeLenInByte = 824
; TotalNumSgprs: 18
; NumVgprs: 24
; ScratchSize: 0
; MemoryBound: 0
; FloatMode: 240
; IeeeMode: 1
; LDSByteSize: 896 bytes/workgroup (compile time only)
; SGPRBlocks: 0
; VGPRBlocks: 1
; NumSGPRsForWavesPerEU: 18
; NumVGPRsForWavesPerEU: 24
; NamedBarCnt: 0
; Occupancy: 16
; WaveLimiterHint : 1
; COMPUTE_PGM_RSRC2:SCRATCH_EN: 0
; COMPUTE_PGM_RSRC2:USER_SGPR: 2
; COMPUTE_PGM_RSRC2:TRAP_HANDLER: 0
; COMPUTE_PGM_RSRC2:TGID_X_EN: 1
; COMPUTE_PGM_RSRC2:TGID_Y_EN: 0
; COMPUTE_PGM_RSRC2:TGID_Z_EN: 0
; COMPUTE_PGM_RSRC2:TIDIG_COMP_CNT: 0
	.section	.text._ZN9rocsparseL22gebsrmvn_mxn_16_kernelILj56ELj14ELj2E21rocsparse_complex_numIdEEEvi20rocsparse_direction_NS_24const_host_device_scalarIT2_EEPKiS8_PKS5_iiSA_S6_PS5_21rocsparse_index_base_b,"axG",@progbits,_ZN9rocsparseL22gebsrmvn_mxn_16_kernelILj56ELj14ELj2E21rocsparse_complex_numIdEEEvi20rocsparse_direction_NS_24const_host_device_scalarIT2_EEPKiS8_PKS5_iiSA_S6_PS5_21rocsparse_index_base_b,comdat
	.globl	_ZN9rocsparseL22gebsrmvn_mxn_16_kernelILj56ELj14ELj2E21rocsparse_complex_numIdEEEvi20rocsparse_direction_NS_24const_host_device_scalarIT2_EEPKiS8_PKS5_iiSA_S6_PS5_21rocsparse_index_base_b ; -- Begin function _ZN9rocsparseL22gebsrmvn_mxn_16_kernelILj56ELj14ELj2E21rocsparse_complex_numIdEEEvi20rocsparse_direction_NS_24const_host_device_scalarIT2_EEPKiS8_PKS5_iiSA_S6_PS5_21rocsparse_index_base_b
	.p2align	8
	.type	_ZN9rocsparseL22gebsrmvn_mxn_16_kernelILj56ELj14ELj2E21rocsparse_complex_numIdEEEvi20rocsparse_direction_NS_24const_host_device_scalarIT2_EEPKiS8_PKS5_iiSA_S6_PS5_21rocsparse_index_base_b,@function
_ZN9rocsparseL22gebsrmvn_mxn_16_kernelILj56ELj14ELj2E21rocsparse_complex_numIdEEEvi20rocsparse_direction_NS_24const_host_device_scalarIT2_EEPKiS8_PKS5_iiSA_S6_PS5_21rocsparse_index_base_b: ; @_ZN9rocsparseL22gebsrmvn_mxn_16_kernelILj56ELj14ELj2E21rocsparse_complex_numIdEEEvi20rocsparse_direction_NS_24const_host_device_scalarIT2_EEPKiS8_PKS5_iiSA_S6_PS5_21rocsparse_index_base_b
; %bb.0:
	s_clause 0x1
	s_load_b64 s[10:11], s[0:1], 0x58
	s_load_b64 s[2:3], s[0:1], 0x8
	v_mov_b32_e32 v1, 0
	s_add_nc_u64 s[4:5], s[0:1], 8
	s_load_b64 s[6:7], s[0:1], 0x40
	s_wait_kmcnt 0x0
	s_bitcmp1_b32 s11, 0
	s_cselect_b32 s3, s5, s3
	s_cselect_b32 s2, s4, s2
	flat_load_b128 v[6:9], v1, s[2:3]
	s_wait_xcnt 0x0
	s_add_nc_u64 s[2:3], s[0:1], 64
	s_delay_alu instid0(SALU_CYCLE_1)
	s_cselect_b32 s3, s3, s7
	s_cselect_b32 s2, s2, s6
	flat_load_b128 v[2:5], v1, s[2:3]
	s_wait_loadcnt_dscnt 0x101
	v_cmp_eq_f64_e32 vcc_lo, 0, v[6:7]
	s_wait_xcnt 0x0
	v_cmp_eq_f64_e64 s2, 0, v[8:9]
	s_and_b32 s4, vcc_lo, s2
	s_mov_b32 s2, -1
	s_and_saveexec_b32 s3, s4
	s_cbranch_execz .LBB113_2
; %bb.1:
	s_wait_loadcnt_dscnt 0x0
	v_cmp_neq_f64_e32 vcc_lo, 1.0, v[2:3]
	v_cmp_neq_f64_e64 s2, 0, v[4:5]
	s_or_b32 s2, vcc_lo, s2
	s_delay_alu instid0(SALU_CYCLE_1)
	s_or_not1_b32 s2, s2, exec_lo
.LBB113_2:
	s_or_b32 exec_lo, exec_lo, s3
	s_and_saveexec_b32 s3, s2
	s_cbranch_execz .LBB113_29
; %bb.3:
	s_clause 0x1
	s_load_b32 s4, s[0:1], 0x4
	s_load_b64 s[2:3], s[0:1], 0x18
	v_and_b32_e32 v1, 1, v0
	s_delay_alu instid0(VALU_DEP_1) | instskip(SKIP_3) | instid1(SALU_CYCLE_1)
	v_mov_b32_e32 v14, v1
	s_wait_kmcnt 0x0
	s_cmp_lg_u32 s4, 1
	s_cselect_b32 s11, -1, 0
	s_and_b32 vcc_lo, exec_lo, s11
	s_cbranch_vccnz .LBB113_5
; %bb.4:
	v_mul_u32_u24_e32 v10, 0x124a, v0
	s_delay_alu instid0(VALU_DEP_1)
	v_bfe_u32 v14, v10, 16, 1
.LBB113_5:
	s_bfe_u32 s4, ttmp6, 0x4000c
	s_and_b32 s5, ttmp6, 15
	s_add_co_i32 s4, s4, 1
	s_getreg_b32 s6, hwreg(HW_REG_IB_STS2, 6, 4)
	s_mul_i32 s4, ttmp9, s4
	v_mov_b64_e32 v[12:13], 0
	s_add_co_i32 s5, s5, s4
	s_cmp_eq_u32 s6, 0
	v_mov_b64_e32 v[10:11], 0
	s_cselect_b32 s8, ttmp9, s5
	s_delay_alu instid0(SALU_CYCLE_1) | instskip(NEXT) | instid1(SALU_CYCLE_1)
	s_ashr_i32 s9, s8, 31
	s_lshl_b64 s[4:5], s[8:9], 2
	s_delay_alu instid0(SALU_CYCLE_1)
	s_add_nc_u64 s[4:5], s[2:3], s[4:5]
	s_load_b64 s[14:15], s[4:5], 0x0
	s_load_b64 s[2:3], s[0:1], 0x50
	s_wait_kmcnt 0x0
	s_cmp_ge_i32 s14, s15
	s_cbranch_scc1 .LBB113_10
; %bb.6:
	s_clause 0x1
	s_load_b128 s[4:7], s[0:1], 0x20
	s_load_b64 s[12:13], s[0:1], 0x38
	v_mad_u32 v10, s14, 28, v0
	v_mov_b64_e32 v[12:13], 0
	v_mul_u32_u24_e32 v11, 0x925, v0
	s_wait_xcnt 0x0
	s_mul_i32 s0, s10, 28
	s_sub_co_i32 s1, s14, s10
	s_delay_alu instid0(VALU_DEP_1) | instskip(NEXT) | instid1(VALU_DEP_4)
	v_lshrrev_b32_e32 v15, 16, v11
	v_subrev_nc_u32_e32 v16, s0, v10
	v_mov_b64_e32 v[10:11], v[12:13]
	s_sub_co_i32 s0, s15, s10
	s_branch .LBB113_8
.LBB113_7:                              ;   in Loop: Header=BB113_8 Depth=1
	s_or_b32 exec_lo, exec_lo, s9
	v_add_nc_u32_e32 v16, 56, v16
	s_add_co_i32 s1, s1, 2
	s_delay_alu instid0(SALU_CYCLE_1)
	s_cmp_ge_i32 s1, s0
	s_cbranch_scc1 .LBB113_10
.LBB113_8:                              ; =>This Inner Loop Header: Depth=1
	v_add_nc_u32_e32 v17, s1, v15
	s_mov_b32 s9, exec_lo
	s_delay_alu instid0(VALU_DEP_1)
	v_cmpx_gt_i32_e64 s0, v17
	s_cbranch_execz .LBB113_7
; %bb.9:                                ;   in Loop: Header=BB113_8 Depth=1
	s_wait_kmcnt 0x0
	global_load_b32 v17, v17, s[4:5] scale_offset
	s_wait_loadcnt 0x0
	v_subrev_nc_u32_e32 v17, s10, v17
	s_delay_alu instid0(VALU_DEP_1)
	v_lshl_or_b32 v17, v17, 1, v14
	global_load_b128 v[18:21], v16, s[6:7] scale_offset
	global_load_b128 v[22:25], v17, s[12:13] scale_offset
	s_wait_loadcnt 0x0
	v_fmac_f64_e32 v[10:11], v[18:19], v[22:23]
	v_fmac_f64_e32 v[12:13], v[20:21], v[22:23]
	s_delay_alu instid0(VALU_DEP_2) | instskip(NEXT) | instid1(VALU_DEP_2)
	v_fma_f64 v[10:11], -v[20:21], v[24:25], v[10:11]
	v_fmac_f64_e32 v[12:13], v[18:19], v[24:25]
	s_branch .LBB113_7
.LBB113_10:
	v_lshlrev_b32_e32 v18, 4, v0
	s_mov_b32 s0, exec_lo
	ds_store_b128 v18, v[10:13]
	s_wait_loadcnt_dscnt 0x0
	s_barrier_signal -1
	s_barrier_wait -1
	v_cmpx_gt_u32_e32 28, v0
	s_cbranch_execz .LBB113_12
; %bb.11:
	ds_load_b128 v[14:17], v18 offset:448
	ds_load_b128 v[20:23], v18
	s_wait_dscnt 0x0
	v_add_f64_e32 v[14:15], v[14:15], v[20:21]
	v_add_f64_e32 v[16:17], v[16:17], v[22:23]
	ds_store_b128 v18, v[14:17]
.LBB113_12:
	s_or_b32 exec_lo, exec_lo, s0
	s_delay_alu instid0(SALU_CYCLE_1)
	s_and_b32 vcc_lo, exec_lo, s11
	s_wait_dscnt 0x0
	s_barrier_signal -1
	s_barrier_wait -1
	s_cbranch_vccz .LBB113_18
; %bb.13:
	s_mov_b32 s0, exec_lo
	v_cmpx_eq_u32_e32 0, v1
	s_cbranch_execz .LBB113_15
; %bb.14:
	ds_load_b128 v[14:17], v18
	ds_load_b128 v[20:23], v18 offset:16
	s_wait_dscnt 0x0
	v_add_f64_e32 v[14:15], v[20:21], v[14:15]
	v_add_f64_e32 v[16:17], v[22:23], v[16:17]
	ds_store_b128 v18, v[14:17]
.LBB113_15:
	s_or_b32 exec_lo, exec_lo, s0
	v_mov_b64_e32 v[16:17], v[12:13]
	v_mov_b64_e32 v[14:15], v[10:11]
	s_mov_b32 s0, exec_lo
	s_wait_dscnt 0x0
	s_barrier_signal -1
	s_barrier_wait -1
	v_cmpx_gt_u32_e32 14, v0
; %bb.16:
	v_lshl_add_u32 v1, v0, 4, v18
	ds_load_b128 v[14:17], v1
; %bb.17:
	s_or_b32 exec_lo, exec_lo, s0
	s_branch .LBB113_24
.LBB113_18:
                                        ; implicit-def: $vgpr16_vgpr17
	s_cbranch_execz .LBB113_24
; %bb.19:
	s_mov_b32 s0, exec_lo
	v_cmpx_lt_u32_e32 13, v0
	s_xor_b32 s0, exec_lo, s0
	s_cbranch_execz .LBB113_21
; %bb.20:
	s_wait_dscnt 0x0
                                        ; implicit-def: $vgpr18
.LBB113_21:
	s_and_not1_saveexec_b32 s0, s0
	s_cbranch_execz .LBB113_23
; %bb.22:
	ds_load_b128 v[10:13], v18 offset:224
	s_wait_dscnt 0x1
	ds_load_b128 v[14:17], v18
	s_wait_dscnt 0x0
	v_add_f64_e32 v[10:11], v[10:11], v[14:15]
	v_add_f64_e32 v[12:13], v[12:13], v[16:17]
	ds_store_b128 v18, v[10:13]
	s_wait_dscnt 0x0
	ds_load_b128 v[10:13], v18
.LBB113_23:
	s_or_b32 exec_lo, exec_lo, s0
	s_wait_dscnt 0x0
	v_mov_b64_e32 v[14:15], v[10:11]
	v_mov_b64_e32 v[16:17], v[12:13]
.LBB113_24:
	v_cmp_gt_u32_e32 vcc_lo, 14, v0
	s_and_b32 exec_lo, exec_lo, vcc_lo
	s_cbranch_execz .LBB113_29
; %bb.25:
	s_wait_dscnt 0x0
	s_delay_alu instid0(VALU_DEP_2)
	v_mul_f64_e64 v[10:11], v[16:17], -v[8:9]
	v_mul_f64_e32 v[12:13], v[6:7], v[16:17]
	v_cmp_eq_f64_e32 vcc_lo, 0, v[2:3]
	v_cmp_eq_f64_e64 s0, 0, v[4:5]
	v_mad_u32 v0, s8, 14, v0
	v_fmac_f64_e32 v[10:11], v[6:7], v[14:15]
	v_fmac_f64_e32 v[12:13], v[8:9], v[14:15]
	s_and_b32 s0, vcc_lo, s0
	s_delay_alu instid0(SALU_CYCLE_1) | instskip(NEXT) | instid1(SALU_CYCLE_1)
	s_and_saveexec_b32 s1, s0
	s_xor_b32 s0, exec_lo, s1
	s_cbranch_execz .LBB113_27
; %bb.26:
	global_store_b128 v0, v[10:13], s[2:3] scale_offset
                                        ; implicit-def: $vgpr0
                                        ; implicit-def: $vgpr2_vgpr3
                                        ; implicit-def: $vgpr10_vgpr11
.LBB113_27:
	s_wait_xcnt 0x0
	s_and_not1_saveexec_b32 s0, s0
	s_cbranch_execz .LBB113_29
; %bb.28:
	global_load_b128 v[6:9], v0, s[2:3] scale_offset
	s_wait_loadcnt 0x0
	v_fmac_f64_e32 v[10:11], v[2:3], v[6:7]
	v_fmac_f64_e32 v[12:13], v[4:5], v[6:7]
	s_delay_alu instid0(VALU_DEP_2) | instskip(NEXT) | instid1(VALU_DEP_2)
	v_fma_f64 v[10:11], -v[4:5], v[8:9], v[10:11]
	v_fmac_f64_e32 v[12:13], v[2:3], v[8:9]
	global_store_b128 v0, v[10:13], s[2:3] scale_offset
.LBB113_29:
	s_endpgm
	.section	.rodata,"a",@progbits
	.p2align	6, 0x0
	.amdhsa_kernel _ZN9rocsparseL22gebsrmvn_mxn_16_kernelILj56ELj14ELj2E21rocsparse_complex_numIdEEEvi20rocsparse_direction_NS_24const_host_device_scalarIT2_EEPKiS8_PKS5_iiSA_S6_PS5_21rocsparse_index_base_b
		.amdhsa_group_segment_fixed_size 896
		.amdhsa_private_segment_fixed_size 0
		.amdhsa_kernarg_size 96
		.amdhsa_user_sgpr_count 2
		.amdhsa_user_sgpr_dispatch_ptr 0
		.amdhsa_user_sgpr_queue_ptr 0
		.amdhsa_user_sgpr_kernarg_segment_ptr 1
		.amdhsa_user_sgpr_dispatch_id 0
		.amdhsa_user_sgpr_kernarg_preload_length 0
		.amdhsa_user_sgpr_kernarg_preload_offset 0
		.amdhsa_user_sgpr_private_segment_size 0
		.amdhsa_wavefront_size32 1
		.amdhsa_uses_dynamic_stack 0
		.amdhsa_enable_private_segment 0
		.amdhsa_system_sgpr_workgroup_id_x 1
		.amdhsa_system_sgpr_workgroup_id_y 0
		.amdhsa_system_sgpr_workgroup_id_z 0
		.amdhsa_system_sgpr_workgroup_info 0
		.amdhsa_system_vgpr_workitem_id 0
		.amdhsa_next_free_vgpr 26
		.amdhsa_next_free_sgpr 16
		.amdhsa_named_barrier_count 0
		.amdhsa_reserve_vcc 1
		.amdhsa_float_round_mode_32 0
		.amdhsa_float_round_mode_16_64 0
		.amdhsa_float_denorm_mode_32 3
		.amdhsa_float_denorm_mode_16_64 3
		.amdhsa_fp16_overflow 0
		.amdhsa_memory_ordered 1
		.amdhsa_forward_progress 1
		.amdhsa_inst_pref_size 8
		.amdhsa_round_robin_scheduling 0
		.amdhsa_exception_fp_ieee_invalid_op 0
		.amdhsa_exception_fp_denorm_src 0
		.amdhsa_exception_fp_ieee_div_zero 0
		.amdhsa_exception_fp_ieee_overflow 0
		.amdhsa_exception_fp_ieee_underflow 0
		.amdhsa_exception_fp_ieee_inexact 0
		.amdhsa_exception_int_div_zero 0
	.end_amdhsa_kernel
	.section	.text._ZN9rocsparseL22gebsrmvn_mxn_16_kernelILj56ELj14ELj2E21rocsparse_complex_numIdEEEvi20rocsparse_direction_NS_24const_host_device_scalarIT2_EEPKiS8_PKS5_iiSA_S6_PS5_21rocsparse_index_base_b,"axG",@progbits,_ZN9rocsparseL22gebsrmvn_mxn_16_kernelILj56ELj14ELj2E21rocsparse_complex_numIdEEEvi20rocsparse_direction_NS_24const_host_device_scalarIT2_EEPKiS8_PKS5_iiSA_S6_PS5_21rocsparse_index_base_b,comdat
.Lfunc_end113:
	.size	_ZN9rocsparseL22gebsrmvn_mxn_16_kernelILj56ELj14ELj2E21rocsparse_complex_numIdEEEvi20rocsparse_direction_NS_24const_host_device_scalarIT2_EEPKiS8_PKS5_iiSA_S6_PS5_21rocsparse_index_base_b, .Lfunc_end113-_ZN9rocsparseL22gebsrmvn_mxn_16_kernelILj56ELj14ELj2E21rocsparse_complex_numIdEEEvi20rocsparse_direction_NS_24const_host_device_scalarIT2_EEPKiS8_PKS5_iiSA_S6_PS5_21rocsparse_index_base_b
                                        ; -- End function
	.set _ZN9rocsparseL22gebsrmvn_mxn_16_kernelILj56ELj14ELj2E21rocsparse_complex_numIdEEEvi20rocsparse_direction_NS_24const_host_device_scalarIT2_EEPKiS8_PKS5_iiSA_S6_PS5_21rocsparse_index_base_b.num_vgpr, 26
	.set _ZN9rocsparseL22gebsrmvn_mxn_16_kernelILj56ELj14ELj2E21rocsparse_complex_numIdEEEvi20rocsparse_direction_NS_24const_host_device_scalarIT2_EEPKiS8_PKS5_iiSA_S6_PS5_21rocsparse_index_base_b.num_agpr, 0
	.set _ZN9rocsparseL22gebsrmvn_mxn_16_kernelILj56ELj14ELj2E21rocsparse_complex_numIdEEEvi20rocsparse_direction_NS_24const_host_device_scalarIT2_EEPKiS8_PKS5_iiSA_S6_PS5_21rocsparse_index_base_b.numbered_sgpr, 16
	.set _ZN9rocsparseL22gebsrmvn_mxn_16_kernelILj56ELj14ELj2E21rocsparse_complex_numIdEEEvi20rocsparse_direction_NS_24const_host_device_scalarIT2_EEPKiS8_PKS5_iiSA_S6_PS5_21rocsparse_index_base_b.num_named_barrier, 0
	.set _ZN9rocsparseL22gebsrmvn_mxn_16_kernelILj56ELj14ELj2E21rocsparse_complex_numIdEEEvi20rocsparse_direction_NS_24const_host_device_scalarIT2_EEPKiS8_PKS5_iiSA_S6_PS5_21rocsparse_index_base_b.private_seg_size, 0
	.set _ZN9rocsparseL22gebsrmvn_mxn_16_kernelILj56ELj14ELj2E21rocsparse_complex_numIdEEEvi20rocsparse_direction_NS_24const_host_device_scalarIT2_EEPKiS8_PKS5_iiSA_S6_PS5_21rocsparse_index_base_b.uses_vcc, 1
	.set _ZN9rocsparseL22gebsrmvn_mxn_16_kernelILj56ELj14ELj2E21rocsparse_complex_numIdEEEvi20rocsparse_direction_NS_24const_host_device_scalarIT2_EEPKiS8_PKS5_iiSA_S6_PS5_21rocsparse_index_base_b.uses_flat_scratch, 0
	.set _ZN9rocsparseL22gebsrmvn_mxn_16_kernelILj56ELj14ELj2E21rocsparse_complex_numIdEEEvi20rocsparse_direction_NS_24const_host_device_scalarIT2_EEPKiS8_PKS5_iiSA_S6_PS5_21rocsparse_index_base_b.has_dyn_sized_stack, 0
	.set _ZN9rocsparseL22gebsrmvn_mxn_16_kernelILj56ELj14ELj2E21rocsparse_complex_numIdEEEvi20rocsparse_direction_NS_24const_host_device_scalarIT2_EEPKiS8_PKS5_iiSA_S6_PS5_21rocsparse_index_base_b.has_recursion, 0
	.set _ZN9rocsparseL22gebsrmvn_mxn_16_kernelILj56ELj14ELj2E21rocsparse_complex_numIdEEEvi20rocsparse_direction_NS_24const_host_device_scalarIT2_EEPKiS8_PKS5_iiSA_S6_PS5_21rocsparse_index_base_b.has_indirect_call, 0
	.section	.AMDGPU.csdata,"",@progbits
; Kernel info:
; codeLenInByte = 1016
; TotalNumSgprs: 18
; NumVgprs: 26
; ScratchSize: 0
; MemoryBound: 0
; FloatMode: 240
; IeeeMode: 1
; LDSByteSize: 896 bytes/workgroup (compile time only)
; SGPRBlocks: 0
; VGPRBlocks: 1
; NumSGPRsForWavesPerEU: 18
; NumVGPRsForWavesPerEU: 26
; NamedBarCnt: 0
; Occupancy: 16
; WaveLimiterHint : 1
; COMPUTE_PGM_RSRC2:SCRATCH_EN: 0
; COMPUTE_PGM_RSRC2:USER_SGPR: 2
; COMPUTE_PGM_RSRC2:TRAP_HANDLER: 0
; COMPUTE_PGM_RSRC2:TGID_X_EN: 1
; COMPUTE_PGM_RSRC2:TGID_Y_EN: 0
; COMPUTE_PGM_RSRC2:TGID_Z_EN: 0
; COMPUTE_PGM_RSRC2:TIDIG_COMP_CNT: 0
	.section	.text._ZN9rocsparseL22gebsrmvn_mxn_16_kernelILj42ELj14ELj3E21rocsparse_complex_numIdEEEvi20rocsparse_direction_NS_24const_host_device_scalarIT2_EEPKiS8_PKS5_iiSA_S6_PS5_21rocsparse_index_base_b,"axG",@progbits,_ZN9rocsparseL22gebsrmvn_mxn_16_kernelILj42ELj14ELj3E21rocsparse_complex_numIdEEEvi20rocsparse_direction_NS_24const_host_device_scalarIT2_EEPKiS8_PKS5_iiSA_S6_PS5_21rocsparse_index_base_b,comdat
	.globl	_ZN9rocsparseL22gebsrmvn_mxn_16_kernelILj42ELj14ELj3E21rocsparse_complex_numIdEEEvi20rocsparse_direction_NS_24const_host_device_scalarIT2_EEPKiS8_PKS5_iiSA_S6_PS5_21rocsparse_index_base_b ; -- Begin function _ZN9rocsparseL22gebsrmvn_mxn_16_kernelILj42ELj14ELj3E21rocsparse_complex_numIdEEEvi20rocsparse_direction_NS_24const_host_device_scalarIT2_EEPKiS8_PKS5_iiSA_S6_PS5_21rocsparse_index_base_b
	.p2align	8
	.type	_ZN9rocsparseL22gebsrmvn_mxn_16_kernelILj42ELj14ELj3E21rocsparse_complex_numIdEEEvi20rocsparse_direction_NS_24const_host_device_scalarIT2_EEPKiS8_PKS5_iiSA_S6_PS5_21rocsparse_index_base_b,@function
_ZN9rocsparseL22gebsrmvn_mxn_16_kernelILj42ELj14ELj3E21rocsparse_complex_numIdEEEvi20rocsparse_direction_NS_24const_host_device_scalarIT2_EEPKiS8_PKS5_iiSA_S6_PS5_21rocsparse_index_base_b: ; @_ZN9rocsparseL22gebsrmvn_mxn_16_kernelILj42ELj14ELj3E21rocsparse_complex_numIdEEEvi20rocsparse_direction_NS_24const_host_device_scalarIT2_EEPKiS8_PKS5_iiSA_S6_PS5_21rocsparse_index_base_b
; %bb.0:
	s_clause 0x1
	s_load_b64 s[10:11], s[0:1], 0x58
	s_load_b64 s[2:3], s[0:1], 0x8
	v_mov_b32_e32 v1, 0
	s_add_nc_u64 s[4:5], s[0:1], 8
	s_load_b64 s[6:7], s[0:1], 0x40
	s_wait_kmcnt 0x0
	s_bitcmp1_b32 s11, 0
	s_cselect_b32 s3, s5, s3
	s_cselect_b32 s2, s4, s2
	flat_load_b128 v[6:9], v1, s[2:3]
	s_wait_xcnt 0x0
	s_add_nc_u64 s[2:3], s[0:1], 64
	s_delay_alu instid0(SALU_CYCLE_1)
	s_cselect_b32 s3, s3, s7
	s_cselect_b32 s2, s2, s6
	flat_load_b128 v[2:5], v1, s[2:3]
	s_wait_loadcnt_dscnt 0x101
	v_cmp_eq_f64_e32 vcc_lo, 0, v[6:7]
	s_wait_xcnt 0x0
	v_cmp_eq_f64_e64 s2, 0, v[8:9]
	s_and_b32 s4, vcc_lo, s2
	s_mov_b32 s2, -1
	s_and_saveexec_b32 s3, s4
	s_cbranch_execz .LBB114_2
; %bb.1:
	s_wait_loadcnt_dscnt 0x0
	v_cmp_neq_f64_e32 vcc_lo, 1.0, v[2:3]
	v_cmp_neq_f64_e64 s2, 0, v[4:5]
	s_or_b32 s2, vcc_lo, s2
	s_delay_alu instid0(SALU_CYCLE_1)
	s_or_not1_b32 s2, s2, exec_lo
.LBB114_2:
	s_or_b32 exec_lo, exec_lo, s3
	s_and_saveexec_b32 s3, s2
	s_cbranch_execz .LBB114_31
; %bb.3:
	v_mul_u32_u24_e32 v1, 0x5556, v0
	s_clause 0x1
	s_load_b32 s4, s[0:1], 0x4
	s_load_b64 s[2:3], s[0:1], 0x18
	v_and_b32_e32 v15, 0xffff, v0
	v_lshrrev_b32_e32 v1, 16, v1
	s_delay_alu instid0(VALU_DEP_1) | instskip(NEXT) | instid1(VALU_DEP_1)
	v_mul_lo_u16 v1, v1, 3
	v_sub_nc_u16 v1, v0, v1
	s_delay_alu instid0(VALU_DEP_1) | instskip(SKIP_3) | instid1(SALU_CYCLE_1)
	v_and_b32_e32 v14, 0xffff, v1
	s_wait_kmcnt 0x0
	s_cmp_lg_u32 s4, 1
	s_cselect_b32 s11, -1, 0
	s_and_b32 vcc_lo, exec_lo, s11
	v_mov_b32_e32 v1, v14
	s_cbranch_vccnz .LBB114_5
; %bb.4:
	v_mul_u32_u24_e32 v1, 0x124a, v15
	s_delay_alu instid0(VALU_DEP_1) | instskip(NEXT) | instid1(VALU_DEP_1)
	v_lshrrev_b32_e32 v1, 16, v1
	v_mul_lo_u16 v10, 0x56, v1
	s_delay_alu instid0(VALU_DEP_1) | instskip(NEXT) | instid1(VALU_DEP_1)
	v_lshrrev_b16 v10, 8, v10
	v_mul_lo_u16 v10, v10, 3
	s_delay_alu instid0(VALU_DEP_1) | instskip(NEXT) | instid1(VALU_DEP_1)
	v_sub_nc_u16 v1, v1, v10
	v_and_b32_e32 v1, 0xff, v1
.LBB114_5:
	s_bfe_u32 s4, ttmp6, 0x4000c
	s_and_b32 s5, ttmp6, 15
	s_add_co_i32 s4, s4, 1
	s_getreg_b32 s6, hwreg(HW_REG_IB_STS2, 6, 4)
	s_mul_i32 s4, ttmp9, s4
	v_mov_b64_e32 v[12:13], 0
	s_add_co_i32 s5, s5, s4
	s_cmp_eq_u32 s6, 0
	v_mov_b64_e32 v[10:11], 0
	s_cselect_b32 s8, ttmp9, s5
	s_delay_alu instid0(SALU_CYCLE_1) | instskip(NEXT) | instid1(SALU_CYCLE_1)
	s_ashr_i32 s9, s8, 31
	s_lshl_b64 s[4:5], s[8:9], 2
	s_delay_alu instid0(SALU_CYCLE_1)
	s_add_nc_u64 s[4:5], s[2:3], s[4:5]
	s_load_b64 s[14:15], s[4:5], 0x0
	s_load_b64 s[2:3], s[0:1], 0x50
	s_wait_kmcnt 0x0
	s_cmp_ge_i32 s14, s15
	s_cbranch_scc1 .LBB114_10
; %bb.6:
	s_clause 0x1
	s_load_b128 s[4:7], s[0:1], 0x20
	s_load_b64 s[12:13], s[0:1], 0x38
	v_mad_u32 v10, s14, 42, v0
	v_mov_b64_e32 v[12:13], 0
	v_mul_u32_u24_e32 v11, 0x619, v15
	s_wait_xcnt 0x0
	s_mul_i32 s0, s10, 42
	s_sub_co_i32 s1, s14, s10
	s_delay_alu instid0(VALU_DEP_1) | instskip(NEXT) | instid1(VALU_DEP_4)
	v_lshrrev_b32_e32 v15, 16, v11
	v_subrev_nc_u32_e32 v16, s0, v10
	v_mov_b64_e32 v[10:11], v[12:13]
	s_sub_co_i32 s0, s15, s10
	s_branch .LBB114_8
.LBB114_7:                              ;   in Loop: Header=BB114_8 Depth=1
	s_or_b32 exec_lo, exec_lo, s9
	v_add_nc_u32_e32 v16, 42, v16
	s_add_co_i32 s1, s1, 1
	s_delay_alu instid0(SALU_CYCLE_1)
	s_cmp_ge_i32 s1, s0
	s_cbranch_scc1 .LBB114_10
.LBB114_8:                              ; =>This Inner Loop Header: Depth=1
	v_add_nc_u32_e32 v17, s1, v15
	s_mov_b32 s9, exec_lo
	s_delay_alu instid0(VALU_DEP_1)
	v_cmpx_gt_i32_e64 s0, v17
	s_cbranch_execz .LBB114_7
; %bb.9:                                ;   in Loop: Header=BB114_8 Depth=1
	s_wait_kmcnt 0x0
	global_load_b32 v17, v17, s[4:5] scale_offset
	s_wait_loadcnt 0x0
	v_subrev_nc_u32_e32 v17, s10, v17
	s_delay_alu instid0(VALU_DEP_1)
	v_mad_u32 v17, v17, 3, v1
	global_load_b128 v[18:21], v16, s[6:7] scale_offset
	global_load_b128 v[22:25], v17, s[12:13] scale_offset
	s_wait_loadcnt 0x0
	v_fmac_f64_e32 v[10:11], v[18:19], v[22:23]
	v_fmac_f64_e32 v[12:13], v[20:21], v[22:23]
	s_delay_alu instid0(VALU_DEP_2) | instskip(NEXT) | instid1(VALU_DEP_2)
	v_fma_f64 v[10:11], -v[20:21], v[24:25], v[10:11]
	v_fmac_f64_e32 v[12:13], v[18:19], v[24:25]
	s_branch .LBB114_7
.LBB114_10:
	v_lshlrev_b32_e32 v1, 4, v0
	s_and_b32 vcc_lo, exec_lo, s11
	ds_store_b128 v1, v[10:13]
	s_wait_loadcnt_dscnt 0x0
	s_barrier_signal -1
	s_barrier_wait -1
	s_cbranch_vccz .LBB114_18
; %bb.11:
	v_cmp_eq_u16_e32 vcc_lo, 0, v14
	s_and_saveexec_b32 s0, vcc_lo
	s_cbranch_execz .LBB114_13
; %bb.12:
	ds_load_b128 v[14:17], v1
	ds_load_b128 v[18:21], v1 offset:32
	s_wait_dscnt 0x0
	v_add_f64_e32 v[14:15], v[18:19], v[14:15]
	v_add_f64_e32 v[16:17], v[20:21], v[16:17]
	ds_store_b128 v1, v[14:17]
.LBB114_13:
	s_or_b32 exec_lo, exec_lo, s0
	s_wait_dscnt 0x0
	s_barrier_signal -1
	s_barrier_wait -1
	s_and_saveexec_b32 s0, vcc_lo
	s_cbranch_execz .LBB114_15
; %bb.14:
	ds_load_b128 v[14:17], v1
	ds_load_b128 v[18:21], v1 offset:16
	s_wait_dscnt 0x0
	v_add_f64_e32 v[14:15], v[18:19], v[14:15]
	v_add_f64_e32 v[16:17], v[20:21], v[16:17]
	ds_store_b128 v1, v[14:17]
.LBB114_15:
	s_or_b32 exec_lo, exec_lo, s0
	v_mov_b64_e32 v[16:17], v[12:13]
	v_mov_b64_e32 v[14:15], v[10:11]
	s_mov_b32 s0, exec_lo
	s_wait_dscnt 0x0
	s_barrier_signal -1
	s_barrier_wait -1
	v_cmpx_gt_u32_e32 14, v0
; %bb.16:
	v_lshl_add_u32 v14, v0, 5, v1
	ds_load_b128 v[14:17], v14
; %bb.17:
	s_or_b32 exec_lo, exec_lo, s0
	v_cmp_gt_u32_e64 s0, 14, v0
	s_branch .LBB114_26
.LBB114_18:
                                        ; implicit-def: $vgpr16_vgpr17
	v_cmp_gt_u32_e64 s0, 14, v0
	s_cbranch_execz .LBB114_26
; %bb.19:
	v_cmp_lt_u32_e32 vcc_lo, 13, v0
	s_and_saveexec_b32 s1, s0
	s_cbranch_execz .LBB114_21
; %bb.20:
	s_wait_dscnt 0x0
	ds_load_b128 v[14:17], v1 offset:448
	ds_load_b128 v[18:21], v1
	s_wait_dscnt 0x0
	v_add_f64_e32 v[14:15], v[14:15], v[18:19]
	v_add_f64_e32 v[16:17], v[16:17], v[20:21]
	ds_store_b128 v1, v[14:17]
.LBB114_21:
	s_or_b32 exec_lo, exec_lo, s1
	s_wait_dscnt 0x0
	s_barrier_signal -1
	s_barrier_wait -1
	s_and_saveexec_b32 s0, vcc_lo
	s_delay_alu instid0(SALU_CYCLE_1)
	s_xor_b32 s0, exec_lo, s0
; %bb.22:
                                        ; implicit-def: $vgpr1
; %bb.23:
	s_delay_alu instid0(SALU_CYCLE_1)
	s_and_not1_saveexec_b32 s0, s0
	s_cbranch_execz .LBB114_25
; %bb.24:
	ds_load_b128 v[10:13], v1 offset:224
	ds_load_b128 v[14:17], v1
	s_wait_dscnt 0x0
	v_add_f64_e32 v[10:11], v[10:11], v[14:15]
	v_add_f64_e32 v[12:13], v[12:13], v[16:17]
	ds_store_b128 v1, v[10:13]
	s_wait_dscnt 0x0
	ds_load_b128 v[10:13], v1
.LBB114_25:
	s_or_b32 exec_lo, exec_lo, s0
	s_wait_dscnt 0x0
	v_mov_b64_e32 v[16:17], v[12:13]
	v_mov_b64_e32 v[14:15], v[10:11]
.LBB114_26:
	v_cmp_gt_u32_e32 vcc_lo, 14, v0
	s_and_b32 exec_lo, exec_lo, vcc_lo
	s_cbranch_execz .LBB114_31
; %bb.27:
	s_wait_dscnt 0x0
	s_delay_alu instid0(VALU_DEP_3)
	v_mul_f64_e64 v[10:11], v[16:17], -v[8:9]
	v_mul_f64_e32 v[12:13], v[6:7], v[16:17]
	v_cmp_eq_f64_e32 vcc_lo, 0, v[2:3]
	v_cmp_eq_f64_e64 s0, 0, v[4:5]
	v_mad_u32 v0, s8, 14, v0
	v_fmac_f64_e32 v[10:11], v[6:7], v[14:15]
	v_fmac_f64_e32 v[12:13], v[8:9], v[14:15]
	s_and_b32 s0, vcc_lo, s0
	s_delay_alu instid0(SALU_CYCLE_1) | instskip(NEXT) | instid1(SALU_CYCLE_1)
	s_and_saveexec_b32 s1, s0
	s_xor_b32 s0, exec_lo, s1
	s_cbranch_execz .LBB114_29
; %bb.28:
	global_store_b128 v0, v[10:13], s[2:3] scale_offset
                                        ; implicit-def: $vgpr0
                                        ; implicit-def: $vgpr2_vgpr3
                                        ; implicit-def: $vgpr10_vgpr11
.LBB114_29:
	s_wait_xcnt 0x0
	s_and_not1_saveexec_b32 s0, s0
	s_cbranch_execz .LBB114_31
; %bb.30:
	global_load_b128 v[6:9], v0, s[2:3] scale_offset
	s_wait_loadcnt 0x0
	v_fmac_f64_e32 v[10:11], v[2:3], v[6:7]
	v_fmac_f64_e32 v[12:13], v[4:5], v[6:7]
	s_delay_alu instid0(VALU_DEP_2) | instskip(NEXT) | instid1(VALU_DEP_2)
	v_fma_f64 v[10:11], -v[4:5], v[8:9], v[10:11]
	v_fmac_f64_e32 v[12:13], v[2:3], v[8:9]
	global_store_b128 v0, v[10:13], s[2:3] scale_offset
.LBB114_31:
	s_endpgm
	.section	.rodata,"a",@progbits
	.p2align	6, 0x0
	.amdhsa_kernel _ZN9rocsparseL22gebsrmvn_mxn_16_kernelILj42ELj14ELj3E21rocsparse_complex_numIdEEEvi20rocsparse_direction_NS_24const_host_device_scalarIT2_EEPKiS8_PKS5_iiSA_S6_PS5_21rocsparse_index_base_b
		.amdhsa_group_segment_fixed_size 672
		.amdhsa_private_segment_fixed_size 0
		.amdhsa_kernarg_size 96
		.amdhsa_user_sgpr_count 2
		.amdhsa_user_sgpr_dispatch_ptr 0
		.amdhsa_user_sgpr_queue_ptr 0
		.amdhsa_user_sgpr_kernarg_segment_ptr 1
		.amdhsa_user_sgpr_dispatch_id 0
		.amdhsa_user_sgpr_kernarg_preload_length 0
		.amdhsa_user_sgpr_kernarg_preload_offset 0
		.amdhsa_user_sgpr_private_segment_size 0
		.amdhsa_wavefront_size32 1
		.amdhsa_uses_dynamic_stack 0
		.amdhsa_enable_private_segment 0
		.amdhsa_system_sgpr_workgroup_id_x 1
		.amdhsa_system_sgpr_workgroup_id_y 0
		.amdhsa_system_sgpr_workgroup_id_z 0
		.amdhsa_system_sgpr_workgroup_info 0
		.amdhsa_system_vgpr_workitem_id 0
		.amdhsa_next_free_vgpr 26
		.amdhsa_next_free_sgpr 16
		.amdhsa_named_barrier_count 0
		.amdhsa_reserve_vcc 1
		.amdhsa_float_round_mode_32 0
		.amdhsa_float_round_mode_16_64 0
		.amdhsa_float_denorm_mode_32 3
		.amdhsa_float_denorm_mode_16_64 3
		.amdhsa_fp16_overflow 0
		.amdhsa_memory_ordered 1
		.amdhsa_forward_progress 1
		.amdhsa_inst_pref_size 10
		.amdhsa_round_robin_scheduling 0
		.amdhsa_exception_fp_ieee_invalid_op 0
		.amdhsa_exception_fp_denorm_src 0
		.amdhsa_exception_fp_ieee_div_zero 0
		.amdhsa_exception_fp_ieee_overflow 0
		.amdhsa_exception_fp_ieee_underflow 0
		.amdhsa_exception_fp_ieee_inexact 0
		.amdhsa_exception_int_div_zero 0
	.end_amdhsa_kernel
	.section	.text._ZN9rocsparseL22gebsrmvn_mxn_16_kernelILj42ELj14ELj3E21rocsparse_complex_numIdEEEvi20rocsparse_direction_NS_24const_host_device_scalarIT2_EEPKiS8_PKS5_iiSA_S6_PS5_21rocsparse_index_base_b,"axG",@progbits,_ZN9rocsparseL22gebsrmvn_mxn_16_kernelILj42ELj14ELj3E21rocsparse_complex_numIdEEEvi20rocsparse_direction_NS_24const_host_device_scalarIT2_EEPKiS8_PKS5_iiSA_S6_PS5_21rocsparse_index_base_b,comdat
.Lfunc_end114:
	.size	_ZN9rocsparseL22gebsrmvn_mxn_16_kernelILj42ELj14ELj3E21rocsparse_complex_numIdEEEvi20rocsparse_direction_NS_24const_host_device_scalarIT2_EEPKiS8_PKS5_iiSA_S6_PS5_21rocsparse_index_base_b, .Lfunc_end114-_ZN9rocsparseL22gebsrmvn_mxn_16_kernelILj42ELj14ELj3E21rocsparse_complex_numIdEEEvi20rocsparse_direction_NS_24const_host_device_scalarIT2_EEPKiS8_PKS5_iiSA_S6_PS5_21rocsparse_index_base_b
                                        ; -- End function
	.set _ZN9rocsparseL22gebsrmvn_mxn_16_kernelILj42ELj14ELj3E21rocsparse_complex_numIdEEEvi20rocsparse_direction_NS_24const_host_device_scalarIT2_EEPKiS8_PKS5_iiSA_S6_PS5_21rocsparse_index_base_b.num_vgpr, 26
	.set _ZN9rocsparseL22gebsrmvn_mxn_16_kernelILj42ELj14ELj3E21rocsparse_complex_numIdEEEvi20rocsparse_direction_NS_24const_host_device_scalarIT2_EEPKiS8_PKS5_iiSA_S6_PS5_21rocsparse_index_base_b.num_agpr, 0
	.set _ZN9rocsparseL22gebsrmvn_mxn_16_kernelILj42ELj14ELj3E21rocsparse_complex_numIdEEEvi20rocsparse_direction_NS_24const_host_device_scalarIT2_EEPKiS8_PKS5_iiSA_S6_PS5_21rocsparse_index_base_b.numbered_sgpr, 16
	.set _ZN9rocsparseL22gebsrmvn_mxn_16_kernelILj42ELj14ELj3E21rocsparse_complex_numIdEEEvi20rocsparse_direction_NS_24const_host_device_scalarIT2_EEPKiS8_PKS5_iiSA_S6_PS5_21rocsparse_index_base_b.num_named_barrier, 0
	.set _ZN9rocsparseL22gebsrmvn_mxn_16_kernelILj42ELj14ELj3E21rocsparse_complex_numIdEEEvi20rocsparse_direction_NS_24const_host_device_scalarIT2_EEPKiS8_PKS5_iiSA_S6_PS5_21rocsparse_index_base_b.private_seg_size, 0
	.set _ZN9rocsparseL22gebsrmvn_mxn_16_kernelILj42ELj14ELj3E21rocsparse_complex_numIdEEEvi20rocsparse_direction_NS_24const_host_device_scalarIT2_EEPKiS8_PKS5_iiSA_S6_PS5_21rocsparse_index_base_b.uses_vcc, 1
	.set _ZN9rocsparseL22gebsrmvn_mxn_16_kernelILj42ELj14ELj3E21rocsparse_complex_numIdEEEvi20rocsparse_direction_NS_24const_host_device_scalarIT2_EEPKiS8_PKS5_iiSA_S6_PS5_21rocsparse_index_base_b.uses_flat_scratch, 0
	.set _ZN9rocsparseL22gebsrmvn_mxn_16_kernelILj42ELj14ELj3E21rocsparse_complex_numIdEEEvi20rocsparse_direction_NS_24const_host_device_scalarIT2_EEPKiS8_PKS5_iiSA_S6_PS5_21rocsparse_index_base_b.has_dyn_sized_stack, 0
	.set _ZN9rocsparseL22gebsrmvn_mxn_16_kernelILj42ELj14ELj3E21rocsparse_complex_numIdEEEvi20rocsparse_direction_NS_24const_host_device_scalarIT2_EEPKiS8_PKS5_iiSA_S6_PS5_21rocsparse_index_base_b.has_recursion, 0
	.set _ZN9rocsparseL22gebsrmvn_mxn_16_kernelILj42ELj14ELj3E21rocsparse_complex_numIdEEEvi20rocsparse_direction_NS_24const_host_device_scalarIT2_EEPKiS8_PKS5_iiSA_S6_PS5_21rocsparse_index_base_b.has_indirect_call, 0
	.section	.AMDGPU.csdata,"",@progbits
; Kernel info:
; codeLenInByte = 1176
; TotalNumSgprs: 18
; NumVgprs: 26
; ScratchSize: 0
; MemoryBound: 0
; FloatMode: 240
; IeeeMode: 1
; LDSByteSize: 672 bytes/workgroup (compile time only)
; SGPRBlocks: 0
; VGPRBlocks: 1
; NumSGPRsForWavesPerEU: 18
; NumVGPRsForWavesPerEU: 26
; NamedBarCnt: 0
; Occupancy: 16
; WaveLimiterHint : 1
; COMPUTE_PGM_RSRC2:SCRATCH_EN: 0
; COMPUTE_PGM_RSRC2:USER_SGPR: 2
; COMPUTE_PGM_RSRC2:TRAP_HANDLER: 0
; COMPUTE_PGM_RSRC2:TGID_X_EN: 1
; COMPUTE_PGM_RSRC2:TGID_Y_EN: 0
; COMPUTE_PGM_RSRC2:TGID_Z_EN: 0
; COMPUTE_PGM_RSRC2:TIDIG_COMP_CNT: 0
	.section	.text._ZN9rocsparseL22gebsrmvn_mxn_16_kernelILj56ELj14ELj4E21rocsparse_complex_numIdEEEvi20rocsparse_direction_NS_24const_host_device_scalarIT2_EEPKiS8_PKS5_iiSA_S6_PS5_21rocsparse_index_base_b,"axG",@progbits,_ZN9rocsparseL22gebsrmvn_mxn_16_kernelILj56ELj14ELj4E21rocsparse_complex_numIdEEEvi20rocsparse_direction_NS_24const_host_device_scalarIT2_EEPKiS8_PKS5_iiSA_S6_PS5_21rocsparse_index_base_b,comdat
	.globl	_ZN9rocsparseL22gebsrmvn_mxn_16_kernelILj56ELj14ELj4E21rocsparse_complex_numIdEEEvi20rocsparse_direction_NS_24const_host_device_scalarIT2_EEPKiS8_PKS5_iiSA_S6_PS5_21rocsparse_index_base_b ; -- Begin function _ZN9rocsparseL22gebsrmvn_mxn_16_kernelILj56ELj14ELj4E21rocsparse_complex_numIdEEEvi20rocsparse_direction_NS_24const_host_device_scalarIT2_EEPKiS8_PKS5_iiSA_S6_PS5_21rocsparse_index_base_b
	.p2align	8
	.type	_ZN9rocsparseL22gebsrmvn_mxn_16_kernelILj56ELj14ELj4E21rocsparse_complex_numIdEEEvi20rocsparse_direction_NS_24const_host_device_scalarIT2_EEPKiS8_PKS5_iiSA_S6_PS5_21rocsparse_index_base_b,@function
_ZN9rocsparseL22gebsrmvn_mxn_16_kernelILj56ELj14ELj4E21rocsparse_complex_numIdEEEvi20rocsparse_direction_NS_24const_host_device_scalarIT2_EEPKiS8_PKS5_iiSA_S6_PS5_21rocsparse_index_base_b: ; @_ZN9rocsparseL22gebsrmvn_mxn_16_kernelILj56ELj14ELj4E21rocsparse_complex_numIdEEEvi20rocsparse_direction_NS_24const_host_device_scalarIT2_EEPKiS8_PKS5_iiSA_S6_PS5_21rocsparse_index_base_b
; %bb.0:
	s_clause 0x1
	s_load_b64 s[10:11], s[0:1], 0x58
	s_load_b64 s[2:3], s[0:1], 0x8
	v_mov_b32_e32 v1, 0
	s_add_nc_u64 s[4:5], s[0:1], 8
	s_load_b64 s[6:7], s[0:1], 0x40
	s_wait_kmcnt 0x0
	s_bitcmp1_b32 s11, 0
	s_cselect_b32 s3, s5, s3
	s_cselect_b32 s2, s4, s2
	flat_load_b128 v[6:9], v1, s[2:3]
	s_wait_xcnt 0x0
	s_add_nc_u64 s[2:3], s[0:1], 64
	s_delay_alu instid0(SALU_CYCLE_1)
	s_cselect_b32 s3, s3, s7
	s_cselect_b32 s2, s2, s6
	flat_load_b128 v[2:5], v1, s[2:3]
	s_wait_loadcnt_dscnt 0x101
	v_cmp_eq_f64_e32 vcc_lo, 0, v[6:7]
	s_wait_xcnt 0x0
	v_cmp_eq_f64_e64 s2, 0, v[8:9]
	s_and_b32 s4, vcc_lo, s2
	s_mov_b32 s2, -1
	s_and_saveexec_b32 s3, s4
	s_cbranch_execz .LBB115_2
; %bb.1:
	s_wait_loadcnt_dscnt 0x0
	v_cmp_neq_f64_e32 vcc_lo, 1.0, v[2:3]
	v_cmp_neq_f64_e64 s2, 0, v[4:5]
	s_or_b32 s2, vcc_lo, s2
	s_delay_alu instid0(SALU_CYCLE_1)
	s_or_not1_b32 s2, s2, exec_lo
.LBB115_2:
	s_or_b32 exec_lo, exec_lo, s3
	s_and_saveexec_b32 s3, s2
	s_cbranch_execz .LBB115_31
; %bb.3:
	s_clause 0x1
	s_load_b32 s4, s[0:1], 0x4
	s_load_b64 s[2:3], s[0:1], 0x18
	v_and_b32_e32 v14, 3, v0
	s_delay_alu instid0(VALU_DEP_1) | instskip(SKIP_3) | instid1(SALU_CYCLE_1)
	v_mov_b32_e32 v1, v14
	s_wait_kmcnt 0x0
	s_cmp_lg_u32 s4, 1
	s_cselect_b32 s11, -1, 0
	s_and_b32 vcc_lo, exec_lo, s11
	s_cbranch_vccnz .LBB115_5
; %bb.4:
	v_mul_u32_u24_e32 v1, 0x124a, v0
	s_delay_alu instid0(VALU_DEP_1)
	v_bfe_u32 v1, v1, 16, 2
.LBB115_5:
	s_bfe_u32 s4, ttmp6, 0x4000c
	s_and_b32 s5, ttmp6, 15
	s_add_co_i32 s4, s4, 1
	s_getreg_b32 s6, hwreg(HW_REG_IB_STS2, 6, 4)
	s_mul_i32 s4, ttmp9, s4
	v_mov_b64_e32 v[12:13], 0
	s_add_co_i32 s5, s5, s4
	s_cmp_eq_u32 s6, 0
	v_mov_b64_e32 v[10:11], 0
	s_cselect_b32 s8, ttmp9, s5
	s_delay_alu instid0(SALU_CYCLE_1) | instskip(NEXT) | instid1(SALU_CYCLE_1)
	s_ashr_i32 s9, s8, 31
	s_lshl_b64 s[4:5], s[8:9], 2
	s_delay_alu instid0(SALU_CYCLE_1)
	s_add_nc_u64 s[4:5], s[2:3], s[4:5]
	s_load_b64 s[14:15], s[4:5], 0x0
	s_load_b64 s[2:3], s[0:1], 0x50
	s_wait_kmcnt 0x0
	s_cmp_ge_i32 s14, s15
	s_cbranch_scc1 .LBB115_10
; %bb.6:
	s_clause 0x1
	s_load_b128 s[4:7], s[0:1], 0x20
	s_load_b64 s[12:13], s[0:1], 0x38
	v_mad_u32 v10, s14, 56, v0
	v_mov_b64_e32 v[12:13], 0
	v_mul_u32_u24_e32 v11, 0x493, v0
	s_wait_xcnt 0x0
	s_mul_i32 s0, s10, 56
	s_sub_co_i32 s1, s14, s10
	s_delay_alu instid0(VALU_DEP_1) | instskip(NEXT) | instid1(VALU_DEP_4)
	v_lshrrev_b32_e32 v15, 16, v11
	v_subrev_nc_u32_e32 v16, s0, v10
	v_mov_b64_e32 v[10:11], v[12:13]
	s_sub_co_i32 s0, s15, s10
	s_branch .LBB115_8
.LBB115_7:                              ;   in Loop: Header=BB115_8 Depth=1
	s_or_b32 exec_lo, exec_lo, s9
	v_add_nc_u32_e32 v16, 56, v16
	s_add_co_i32 s1, s1, 1
	s_delay_alu instid0(SALU_CYCLE_1)
	s_cmp_ge_i32 s1, s0
	s_cbranch_scc1 .LBB115_10
.LBB115_8:                              ; =>This Inner Loop Header: Depth=1
	v_add_nc_u32_e32 v17, s1, v15
	s_mov_b32 s9, exec_lo
	s_delay_alu instid0(VALU_DEP_1)
	v_cmpx_gt_i32_e64 s0, v17
	s_cbranch_execz .LBB115_7
; %bb.9:                                ;   in Loop: Header=BB115_8 Depth=1
	s_wait_kmcnt 0x0
	global_load_b32 v17, v17, s[4:5] scale_offset
	s_wait_loadcnt 0x0
	v_subrev_nc_u32_e32 v17, s10, v17
	s_delay_alu instid0(VALU_DEP_1)
	v_lshl_or_b32 v17, v17, 2, v1
	global_load_b128 v[18:21], v16, s[6:7] scale_offset
	global_load_b128 v[22:25], v17, s[12:13] scale_offset
	s_wait_loadcnt 0x0
	v_fmac_f64_e32 v[10:11], v[18:19], v[22:23]
	v_fmac_f64_e32 v[12:13], v[20:21], v[22:23]
	s_delay_alu instid0(VALU_DEP_2) | instskip(NEXT) | instid1(VALU_DEP_2)
	v_fma_f64 v[10:11], -v[20:21], v[24:25], v[10:11]
	v_fmac_f64_e32 v[12:13], v[18:19], v[24:25]
	s_branch .LBB115_7
.LBB115_10:
	v_lshlrev_b32_e32 v1, 4, v0
	s_and_b32 vcc_lo, exec_lo, s11
	ds_store_b128 v1, v[10:13]
	s_wait_loadcnt_dscnt 0x0
	s_barrier_signal -1
	s_barrier_wait -1
	s_cbranch_vccz .LBB115_18
; %bb.11:
	s_mov_b32 s0, exec_lo
	v_cmpx_gt_u32_e32 2, v14
	s_cbranch_execz .LBB115_13
; %bb.12:
	ds_load_b128 v[16:19], v1
	ds_load_b128 v[20:23], v1 offset:32
	s_wait_dscnt 0x0
	v_add_f64_e32 v[16:17], v[20:21], v[16:17]
	v_add_f64_e32 v[18:19], v[22:23], v[18:19]
	ds_store_b128 v1, v[16:19]
.LBB115_13:
	s_or_b32 exec_lo, exec_lo, s0
	s_delay_alu instid0(SALU_CYCLE_1)
	s_mov_b32 s0, exec_lo
	s_wait_dscnt 0x0
	s_barrier_signal -1
	s_barrier_wait -1
	v_cmpx_eq_u32_e32 0, v14
	s_cbranch_execz .LBB115_15
; %bb.14:
	ds_load_b128 v[14:17], v1
	ds_load_b128 v[18:21], v1 offset:16
	s_wait_dscnt 0x0
	v_add_f64_e32 v[14:15], v[18:19], v[14:15]
	v_add_f64_e32 v[16:17], v[20:21], v[16:17]
	ds_store_b128 v1, v[14:17]
.LBB115_15:
	s_or_b32 exec_lo, exec_lo, s0
	v_mov_b64_e32 v[16:17], v[12:13]
	v_mov_b64_e32 v[14:15], v[10:11]
	s_mov_b32 s0, exec_lo
	s_wait_dscnt 0x0
	s_barrier_signal -1
	s_barrier_wait -1
	v_cmpx_gt_u32_e32 14, v0
; %bb.16:
	v_mad_u32_u24 v14, v0, 48, v1
	ds_load_b128 v[14:17], v14
; %bb.17:
	s_or_b32 exec_lo, exec_lo, s0
	s_branch .LBB115_26
.LBB115_18:
                                        ; implicit-def: $vgpr16_vgpr17
	s_cbranch_execz .LBB115_26
; %bb.19:
	s_mov_b32 s0, exec_lo
	v_cmpx_gt_u32_e32 28, v0
	s_cbranch_execz .LBB115_21
; %bb.20:
	s_wait_dscnt 0x0
	ds_load_b128 v[14:17], v1 offset:448
	ds_load_b128 v[18:21], v1
	s_wait_dscnt 0x0
	v_add_f64_e32 v[14:15], v[14:15], v[18:19]
	v_add_f64_e32 v[16:17], v[16:17], v[20:21]
	ds_store_b128 v1, v[14:17]
.LBB115_21:
	s_or_b32 exec_lo, exec_lo, s0
	s_delay_alu instid0(SALU_CYCLE_1)
	s_mov_b32 s0, exec_lo
	s_wait_dscnt 0x0
	v_cmpx_lt_u32_e32 13, v0
	s_xor_b32 s0, exec_lo, s0
; %bb.22:
                                        ; implicit-def: $vgpr1
; %bb.23:
	s_delay_alu instid0(SALU_CYCLE_1)
	s_and_not1_saveexec_b32 s0, s0
	s_cbranch_execz .LBB115_25
; %bb.24:
	ds_load_b128 v[10:13], v1 offset:224
	ds_load_b128 v[14:17], v1
	s_wait_dscnt 0x0
	v_add_f64_e32 v[10:11], v[10:11], v[14:15]
	v_add_f64_e32 v[12:13], v[12:13], v[16:17]
	ds_store_b128 v1, v[10:13]
	s_wait_dscnt 0x0
	ds_load_b128 v[10:13], v1
.LBB115_25:
	s_or_b32 exec_lo, exec_lo, s0
	s_wait_dscnt 0x0
	v_mov_b64_e32 v[16:17], v[12:13]
	v_mov_b64_e32 v[14:15], v[10:11]
.LBB115_26:
	v_cmp_gt_u32_e32 vcc_lo, 14, v0
	s_and_b32 exec_lo, exec_lo, vcc_lo
	s_cbranch_execz .LBB115_31
; %bb.27:
	s_wait_dscnt 0x0
	s_delay_alu instid0(VALU_DEP_3)
	v_mul_f64_e64 v[10:11], v[16:17], -v[8:9]
	v_mul_f64_e32 v[12:13], v[6:7], v[16:17]
	v_cmp_eq_f64_e32 vcc_lo, 0, v[2:3]
	v_cmp_eq_f64_e64 s0, 0, v[4:5]
	v_mad_u32 v0, s8, 14, v0
	v_fmac_f64_e32 v[10:11], v[6:7], v[14:15]
	v_fmac_f64_e32 v[12:13], v[8:9], v[14:15]
	s_and_b32 s0, vcc_lo, s0
	s_delay_alu instid0(SALU_CYCLE_1) | instskip(NEXT) | instid1(SALU_CYCLE_1)
	s_and_saveexec_b32 s1, s0
	s_xor_b32 s0, exec_lo, s1
	s_cbranch_execz .LBB115_29
; %bb.28:
	global_store_b128 v0, v[10:13], s[2:3] scale_offset
                                        ; implicit-def: $vgpr0
                                        ; implicit-def: $vgpr2_vgpr3
                                        ; implicit-def: $vgpr10_vgpr11
.LBB115_29:
	s_wait_xcnt 0x0
	s_and_not1_saveexec_b32 s0, s0
	s_cbranch_execz .LBB115_31
; %bb.30:
	global_load_b128 v[6:9], v0, s[2:3] scale_offset
	s_wait_loadcnt 0x0
	v_fmac_f64_e32 v[10:11], v[2:3], v[6:7]
	v_fmac_f64_e32 v[12:13], v[4:5], v[6:7]
	s_delay_alu instid0(VALU_DEP_2) | instskip(NEXT) | instid1(VALU_DEP_2)
	v_fma_f64 v[10:11], -v[4:5], v[8:9], v[10:11]
	v_fmac_f64_e32 v[12:13], v[2:3], v[8:9]
	global_store_b128 v0, v[10:13], s[2:3] scale_offset
.LBB115_31:
	s_endpgm
	.section	.rodata,"a",@progbits
	.p2align	6, 0x0
	.amdhsa_kernel _ZN9rocsparseL22gebsrmvn_mxn_16_kernelILj56ELj14ELj4E21rocsparse_complex_numIdEEEvi20rocsparse_direction_NS_24const_host_device_scalarIT2_EEPKiS8_PKS5_iiSA_S6_PS5_21rocsparse_index_base_b
		.amdhsa_group_segment_fixed_size 896
		.amdhsa_private_segment_fixed_size 0
		.amdhsa_kernarg_size 96
		.amdhsa_user_sgpr_count 2
		.amdhsa_user_sgpr_dispatch_ptr 0
		.amdhsa_user_sgpr_queue_ptr 0
		.amdhsa_user_sgpr_kernarg_segment_ptr 1
		.amdhsa_user_sgpr_dispatch_id 0
		.amdhsa_user_sgpr_kernarg_preload_length 0
		.amdhsa_user_sgpr_kernarg_preload_offset 0
		.amdhsa_user_sgpr_private_segment_size 0
		.amdhsa_wavefront_size32 1
		.amdhsa_uses_dynamic_stack 0
		.amdhsa_enable_private_segment 0
		.amdhsa_system_sgpr_workgroup_id_x 1
		.amdhsa_system_sgpr_workgroup_id_y 0
		.amdhsa_system_sgpr_workgroup_id_z 0
		.amdhsa_system_sgpr_workgroup_info 0
		.amdhsa_system_vgpr_workitem_id 0
		.amdhsa_next_free_vgpr 26
		.amdhsa_next_free_sgpr 16
		.amdhsa_named_barrier_count 0
		.amdhsa_reserve_vcc 1
		.amdhsa_float_round_mode_32 0
		.amdhsa_float_round_mode_16_64 0
		.amdhsa_float_denorm_mode_32 3
		.amdhsa_float_denorm_mode_16_64 3
		.amdhsa_fp16_overflow 0
		.amdhsa_memory_ordered 1
		.amdhsa_forward_progress 1
		.amdhsa_inst_pref_size 9
		.amdhsa_round_robin_scheduling 0
		.amdhsa_exception_fp_ieee_invalid_op 0
		.amdhsa_exception_fp_denorm_src 0
		.amdhsa_exception_fp_ieee_div_zero 0
		.amdhsa_exception_fp_ieee_overflow 0
		.amdhsa_exception_fp_ieee_underflow 0
		.amdhsa_exception_fp_ieee_inexact 0
		.amdhsa_exception_int_div_zero 0
	.end_amdhsa_kernel
	.section	.text._ZN9rocsparseL22gebsrmvn_mxn_16_kernelILj56ELj14ELj4E21rocsparse_complex_numIdEEEvi20rocsparse_direction_NS_24const_host_device_scalarIT2_EEPKiS8_PKS5_iiSA_S6_PS5_21rocsparse_index_base_b,"axG",@progbits,_ZN9rocsparseL22gebsrmvn_mxn_16_kernelILj56ELj14ELj4E21rocsparse_complex_numIdEEEvi20rocsparse_direction_NS_24const_host_device_scalarIT2_EEPKiS8_PKS5_iiSA_S6_PS5_21rocsparse_index_base_b,comdat
.Lfunc_end115:
	.size	_ZN9rocsparseL22gebsrmvn_mxn_16_kernelILj56ELj14ELj4E21rocsparse_complex_numIdEEEvi20rocsparse_direction_NS_24const_host_device_scalarIT2_EEPKiS8_PKS5_iiSA_S6_PS5_21rocsparse_index_base_b, .Lfunc_end115-_ZN9rocsparseL22gebsrmvn_mxn_16_kernelILj56ELj14ELj4E21rocsparse_complex_numIdEEEvi20rocsparse_direction_NS_24const_host_device_scalarIT2_EEPKiS8_PKS5_iiSA_S6_PS5_21rocsparse_index_base_b
                                        ; -- End function
	.set _ZN9rocsparseL22gebsrmvn_mxn_16_kernelILj56ELj14ELj4E21rocsparse_complex_numIdEEEvi20rocsparse_direction_NS_24const_host_device_scalarIT2_EEPKiS8_PKS5_iiSA_S6_PS5_21rocsparse_index_base_b.num_vgpr, 26
	.set _ZN9rocsparseL22gebsrmvn_mxn_16_kernelILj56ELj14ELj4E21rocsparse_complex_numIdEEEvi20rocsparse_direction_NS_24const_host_device_scalarIT2_EEPKiS8_PKS5_iiSA_S6_PS5_21rocsparse_index_base_b.num_agpr, 0
	.set _ZN9rocsparseL22gebsrmvn_mxn_16_kernelILj56ELj14ELj4E21rocsparse_complex_numIdEEEvi20rocsparse_direction_NS_24const_host_device_scalarIT2_EEPKiS8_PKS5_iiSA_S6_PS5_21rocsparse_index_base_b.numbered_sgpr, 16
	.set _ZN9rocsparseL22gebsrmvn_mxn_16_kernelILj56ELj14ELj4E21rocsparse_complex_numIdEEEvi20rocsparse_direction_NS_24const_host_device_scalarIT2_EEPKiS8_PKS5_iiSA_S6_PS5_21rocsparse_index_base_b.num_named_barrier, 0
	.set _ZN9rocsparseL22gebsrmvn_mxn_16_kernelILj56ELj14ELj4E21rocsparse_complex_numIdEEEvi20rocsparse_direction_NS_24const_host_device_scalarIT2_EEPKiS8_PKS5_iiSA_S6_PS5_21rocsparse_index_base_b.private_seg_size, 0
	.set _ZN9rocsparseL22gebsrmvn_mxn_16_kernelILj56ELj14ELj4E21rocsparse_complex_numIdEEEvi20rocsparse_direction_NS_24const_host_device_scalarIT2_EEPKiS8_PKS5_iiSA_S6_PS5_21rocsparse_index_base_b.uses_vcc, 1
	.set _ZN9rocsparseL22gebsrmvn_mxn_16_kernelILj56ELj14ELj4E21rocsparse_complex_numIdEEEvi20rocsparse_direction_NS_24const_host_device_scalarIT2_EEPKiS8_PKS5_iiSA_S6_PS5_21rocsparse_index_base_b.uses_flat_scratch, 0
	.set _ZN9rocsparseL22gebsrmvn_mxn_16_kernelILj56ELj14ELj4E21rocsparse_complex_numIdEEEvi20rocsparse_direction_NS_24const_host_device_scalarIT2_EEPKiS8_PKS5_iiSA_S6_PS5_21rocsparse_index_base_b.has_dyn_sized_stack, 0
	.set _ZN9rocsparseL22gebsrmvn_mxn_16_kernelILj56ELj14ELj4E21rocsparse_complex_numIdEEEvi20rocsparse_direction_NS_24const_host_device_scalarIT2_EEPKiS8_PKS5_iiSA_S6_PS5_21rocsparse_index_base_b.has_recursion, 0
	.set _ZN9rocsparseL22gebsrmvn_mxn_16_kernelILj56ELj14ELj4E21rocsparse_complex_numIdEEEvi20rocsparse_direction_NS_24const_host_device_scalarIT2_EEPKiS8_PKS5_iiSA_S6_PS5_21rocsparse_index_base_b.has_indirect_call, 0
	.section	.AMDGPU.csdata,"",@progbits
; Kernel info:
; codeLenInByte = 1072
; TotalNumSgprs: 18
; NumVgprs: 26
; ScratchSize: 0
; MemoryBound: 0
; FloatMode: 240
; IeeeMode: 1
; LDSByteSize: 896 bytes/workgroup (compile time only)
; SGPRBlocks: 0
; VGPRBlocks: 1
; NumSGPRsForWavesPerEU: 18
; NumVGPRsForWavesPerEU: 26
; NamedBarCnt: 0
; Occupancy: 16
; WaveLimiterHint : 1
; COMPUTE_PGM_RSRC2:SCRATCH_EN: 0
; COMPUTE_PGM_RSRC2:USER_SGPR: 2
; COMPUTE_PGM_RSRC2:TRAP_HANDLER: 0
; COMPUTE_PGM_RSRC2:TGID_X_EN: 1
; COMPUTE_PGM_RSRC2:TGID_Y_EN: 0
; COMPUTE_PGM_RSRC2:TGID_Z_EN: 0
; COMPUTE_PGM_RSRC2:TIDIG_COMP_CNT: 0
	.section	.text._ZN9rocsparseL22gebsrmvn_mxn_16_kernelILj70ELj14ELj5E21rocsparse_complex_numIdEEEvi20rocsparse_direction_NS_24const_host_device_scalarIT2_EEPKiS8_PKS5_iiSA_S6_PS5_21rocsparse_index_base_b,"axG",@progbits,_ZN9rocsparseL22gebsrmvn_mxn_16_kernelILj70ELj14ELj5E21rocsparse_complex_numIdEEEvi20rocsparse_direction_NS_24const_host_device_scalarIT2_EEPKiS8_PKS5_iiSA_S6_PS5_21rocsparse_index_base_b,comdat
	.globl	_ZN9rocsparseL22gebsrmvn_mxn_16_kernelILj70ELj14ELj5E21rocsparse_complex_numIdEEEvi20rocsparse_direction_NS_24const_host_device_scalarIT2_EEPKiS8_PKS5_iiSA_S6_PS5_21rocsparse_index_base_b ; -- Begin function _ZN9rocsparseL22gebsrmvn_mxn_16_kernelILj70ELj14ELj5E21rocsparse_complex_numIdEEEvi20rocsparse_direction_NS_24const_host_device_scalarIT2_EEPKiS8_PKS5_iiSA_S6_PS5_21rocsparse_index_base_b
	.p2align	8
	.type	_ZN9rocsparseL22gebsrmvn_mxn_16_kernelILj70ELj14ELj5E21rocsparse_complex_numIdEEEvi20rocsparse_direction_NS_24const_host_device_scalarIT2_EEPKiS8_PKS5_iiSA_S6_PS5_21rocsparse_index_base_b,@function
_ZN9rocsparseL22gebsrmvn_mxn_16_kernelILj70ELj14ELj5E21rocsparse_complex_numIdEEEvi20rocsparse_direction_NS_24const_host_device_scalarIT2_EEPKiS8_PKS5_iiSA_S6_PS5_21rocsparse_index_base_b: ; @_ZN9rocsparseL22gebsrmvn_mxn_16_kernelILj70ELj14ELj5E21rocsparse_complex_numIdEEEvi20rocsparse_direction_NS_24const_host_device_scalarIT2_EEPKiS8_PKS5_iiSA_S6_PS5_21rocsparse_index_base_b
; %bb.0:
	s_clause 0x1
	s_load_b64 s[10:11], s[0:1], 0x58
	s_load_b64 s[2:3], s[0:1], 0x8
	v_mov_b32_e32 v1, 0
	s_add_nc_u64 s[4:5], s[0:1], 8
	s_load_b64 s[6:7], s[0:1], 0x40
	s_wait_kmcnt 0x0
	s_bitcmp1_b32 s11, 0
	s_cselect_b32 s3, s5, s3
	s_cselect_b32 s2, s4, s2
	flat_load_b128 v[6:9], v1, s[2:3]
	s_wait_xcnt 0x0
	s_add_nc_u64 s[2:3], s[0:1], 64
	s_delay_alu instid0(SALU_CYCLE_1)
	s_cselect_b32 s3, s3, s7
	s_cselect_b32 s2, s2, s6
	flat_load_b128 v[2:5], v1, s[2:3]
	s_wait_loadcnt_dscnt 0x101
	v_cmp_eq_f64_e32 vcc_lo, 0, v[6:7]
	s_wait_xcnt 0x0
	v_cmp_eq_f64_e64 s2, 0, v[8:9]
	s_and_b32 s4, vcc_lo, s2
	s_mov_b32 s2, -1
	s_and_saveexec_b32 s3, s4
	s_cbranch_execz .LBB116_2
; %bb.1:
	s_wait_loadcnt_dscnt 0x0
	v_cmp_neq_f64_e32 vcc_lo, 1.0, v[2:3]
	v_cmp_neq_f64_e64 s2, 0, v[4:5]
	s_or_b32 s2, vcc_lo, s2
	s_delay_alu instid0(SALU_CYCLE_1)
	s_or_not1_b32 s2, s2, exec_lo
.LBB116_2:
	s_or_b32 exec_lo, exec_lo, s3
	s_and_saveexec_b32 s3, s2
	s_cbranch_execz .LBB116_35
; %bb.3:
	v_mul_u32_u24_e32 v1, 0x3334, v0
	s_clause 0x1
	s_load_b32 s4, s[0:1], 0x4
	s_load_b64 s[2:3], s[0:1], 0x18
	v_and_b32_e32 v15, 0xffff, v0
	v_lshrrev_b32_e32 v1, 16, v1
	s_delay_alu instid0(VALU_DEP_1) | instskip(NEXT) | instid1(VALU_DEP_1)
	v_mul_lo_u16 v1, v1, 5
	v_sub_nc_u16 v1, v0, v1
	s_delay_alu instid0(VALU_DEP_1) | instskip(SKIP_3) | instid1(SALU_CYCLE_1)
	v_and_b32_e32 v14, 0xffff, v1
	s_wait_kmcnt 0x0
	s_cmp_lg_u32 s4, 1
	s_cselect_b32 s11, -1, 0
	s_and_b32 vcc_lo, exec_lo, s11
	v_mov_b32_e32 v1, v14
	s_cbranch_vccnz .LBB116_5
; %bb.4:
	v_mul_u32_u24_e32 v1, 0x124a, v15
	s_delay_alu instid0(VALU_DEP_1) | instskip(NEXT) | instid1(VALU_DEP_1)
	v_lshrrev_b32_e32 v1, 16, v1
	v_mul_lo_u16 v10, v1, 52
	s_delay_alu instid0(VALU_DEP_1) | instskip(NEXT) | instid1(VALU_DEP_1)
	v_lshrrev_b16 v10, 8, v10
	v_mul_lo_u16 v10, v10, 5
	s_delay_alu instid0(VALU_DEP_1) | instskip(NEXT) | instid1(VALU_DEP_1)
	v_sub_nc_u16 v1, v1, v10
	v_and_b32_e32 v1, 0xff, v1
.LBB116_5:
	s_bfe_u32 s4, ttmp6, 0x4000c
	s_and_b32 s5, ttmp6, 15
	s_add_co_i32 s4, s4, 1
	s_getreg_b32 s6, hwreg(HW_REG_IB_STS2, 6, 4)
	s_mul_i32 s4, ttmp9, s4
	v_mov_b64_e32 v[12:13], 0
	s_add_co_i32 s5, s5, s4
	s_cmp_eq_u32 s6, 0
	v_mov_b64_e32 v[10:11], 0
	s_cselect_b32 s8, ttmp9, s5
	s_delay_alu instid0(SALU_CYCLE_1) | instskip(NEXT) | instid1(SALU_CYCLE_1)
	s_ashr_i32 s9, s8, 31
	s_lshl_b64 s[4:5], s[8:9], 2
	s_delay_alu instid0(SALU_CYCLE_1)
	s_add_nc_u64 s[4:5], s[2:3], s[4:5]
	s_load_b64 s[14:15], s[4:5], 0x0
	s_load_b64 s[2:3], s[0:1], 0x50
	s_wait_kmcnt 0x0
	s_cmp_ge_i32 s14, s15
	s_cbranch_scc1 .LBB116_10
; %bb.6:
	s_clause 0x1
	s_load_b128 s[4:7], s[0:1], 0x20
	s_load_b64 s[12:13], s[0:1], 0x38
	v_mad_u32 v10, 0x46, s14, v0
	v_mov_b64_e32 v[12:13], 0
	v_mul_u32_u24_e32 v11, 0x3a9, v15
	s_wait_xcnt 0x0
	s_mul_i32 s0, s10, 0x46
	s_sub_co_i32 s1, s14, s10
	s_delay_alu instid0(VALU_DEP_1) | instskip(NEXT) | instid1(VALU_DEP_4)
	v_lshrrev_b32_e32 v15, 16, v11
	v_subrev_nc_u32_e32 v16, s0, v10
	v_mov_b64_e32 v[10:11], v[12:13]
	s_sub_co_i32 s0, s15, s10
	s_branch .LBB116_8
.LBB116_7:                              ;   in Loop: Header=BB116_8 Depth=1
	s_or_b32 exec_lo, exec_lo, s9
	v_add_nc_u32_e32 v16, 0x46, v16
	s_add_co_i32 s1, s1, 1
	s_delay_alu instid0(SALU_CYCLE_1)
	s_cmp_ge_i32 s1, s0
	s_cbranch_scc1 .LBB116_10
.LBB116_8:                              ; =>This Inner Loop Header: Depth=1
	v_add_nc_u32_e32 v17, s1, v15
	s_mov_b32 s9, exec_lo
	s_delay_alu instid0(VALU_DEP_1)
	v_cmpx_gt_i32_e64 s0, v17
	s_cbranch_execz .LBB116_7
; %bb.9:                                ;   in Loop: Header=BB116_8 Depth=1
	s_wait_kmcnt 0x0
	global_load_b32 v17, v17, s[4:5] scale_offset
	s_wait_loadcnt 0x0
	v_subrev_nc_u32_e32 v17, s10, v17
	s_delay_alu instid0(VALU_DEP_1)
	v_mad_u32 v17, v17, 5, v1
	global_load_b128 v[18:21], v16, s[6:7] scale_offset
	global_load_b128 v[22:25], v17, s[12:13] scale_offset
	s_wait_loadcnt 0x0
	v_fmac_f64_e32 v[10:11], v[18:19], v[22:23]
	v_fmac_f64_e32 v[12:13], v[20:21], v[22:23]
	s_delay_alu instid0(VALU_DEP_2) | instskip(NEXT) | instid1(VALU_DEP_2)
	v_fma_f64 v[10:11], -v[20:21], v[24:25], v[10:11]
	v_fmac_f64_e32 v[12:13], v[18:19], v[24:25]
	s_branch .LBB116_7
.LBB116_10:
	v_lshlrev_b32_e32 v1, 4, v0
	s_and_b32 vcc_lo, exec_lo, s11
	ds_store_b128 v1, v[10:13]
	s_wait_loadcnt_dscnt 0x0
	s_barrier_signal -1
	s_barrier_wait -1
	s_cbranch_vccz .LBB116_20
; %bb.11:
	v_cmp_eq_u16_e32 vcc_lo, 0, v14
	s_and_saveexec_b32 s0, vcc_lo
	s_cbranch_execz .LBB116_13
; %bb.12:
	ds_load_b128 v[16:19], v1 offset:64
	ds_load_b128 v[20:23], v1
	s_wait_dscnt 0x0
	v_add_f64_e32 v[16:17], v[16:17], v[20:21]
	v_add_f64_e32 v[18:19], v[18:19], v[22:23]
	ds_store_b128 v1, v[16:19]
.LBB116_13:
	s_or_b32 exec_lo, exec_lo, s0
	s_delay_alu instid0(SALU_CYCLE_1)
	s_mov_b32 s1, exec_lo
	s_wait_dscnt 0x0
	s_barrier_signal -1
	s_barrier_wait -1
	v_cmpx_gt_u16_e32 2, v14
	s_cbranch_execz .LBB116_15
; %bb.14:
	ds_load_b128 v[14:17], v1
	ds_load_b128 v[18:21], v1 offset:32
	s_wait_dscnt 0x0
	v_add_f64_e32 v[14:15], v[18:19], v[14:15]
	v_add_f64_e32 v[16:17], v[20:21], v[16:17]
	ds_store_b128 v1, v[14:17]
.LBB116_15:
	s_or_b32 exec_lo, exec_lo, s1
	s_wait_dscnt 0x0
	s_barrier_signal -1
	s_barrier_wait -1
	s_and_saveexec_b32 s0, vcc_lo
	s_cbranch_execz .LBB116_17
; %bb.16:
	ds_load_b128 v[14:17], v1
	ds_load_b128 v[18:21], v1 offset:16
	s_wait_dscnt 0x0
	v_add_f64_e32 v[14:15], v[18:19], v[14:15]
	v_add_f64_e32 v[16:17], v[20:21], v[16:17]
	ds_store_b128 v1, v[14:17]
.LBB116_17:
	s_or_b32 exec_lo, exec_lo, s0
	v_mov_b64_e32 v[16:17], v[12:13]
	v_mov_b64_e32 v[14:15], v[10:11]
	s_mov_b32 s0, exec_lo
	s_wait_dscnt 0x0
	s_barrier_signal -1
	s_barrier_wait -1
	v_cmpx_gt_u32_e32 14, v0
; %bb.18:
	v_lshl_add_u32 v14, v0, 6, v1
	ds_load_b128 v[14:17], v14
; %bb.19:
	s_or_b32 exec_lo, exec_lo, s0
	v_cmp_gt_u32_e64 s0, 14, v0
	s_branch .LBB116_30
.LBB116_20:
                                        ; implicit-def: $vgpr16_vgpr17
	v_cmp_gt_u32_e64 s0, 14, v0
	s_cbranch_execz .LBB116_30
; %bb.21:
	v_cmp_lt_u32_e32 vcc_lo, 13, v0
	s_and_saveexec_b32 s1, s0
	s_cbranch_execz .LBB116_23
; %bb.22:
	s_wait_dscnt 0x0
	ds_load_b128 v[14:17], v1 offset:896
	ds_load_b128 v[18:21], v1
	s_wait_dscnt 0x0
	v_add_f64_e32 v[14:15], v[14:15], v[18:19]
	v_add_f64_e32 v[16:17], v[16:17], v[20:21]
	ds_store_b128 v1, v[14:17]
.LBB116_23:
	s_or_b32 exec_lo, exec_lo, s1
	s_delay_alu instid0(SALU_CYCLE_1)
	s_mov_b32 s1, exec_lo
	s_wait_dscnt 0x0
	s_barrier_signal -1
	s_barrier_wait -1
	v_cmpx_gt_u32_e32 28, v0
	s_cbranch_execz .LBB116_25
; %bb.24:
	ds_load_b128 v[14:17], v1 offset:448
	ds_load_b128 v[18:21], v1
	s_wait_dscnt 0x0
	v_add_f64_e32 v[14:15], v[14:15], v[18:19]
	v_add_f64_e32 v[16:17], v[16:17], v[20:21]
	ds_store_b128 v1, v[14:17]
.LBB116_25:
	s_or_b32 exec_lo, exec_lo, s1
	s_wait_dscnt 0x0
	s_and_saveexec_b32 s0, vcc_lo
	s_delay_alu instid0(SALU_CYCLE_1)
	s_xor_b32 s0, exec_lo, s0
; %bb.26:
                                        ; implicit-def: $vgpr1
; %bb.27:
	s_delay_alu instid0(SALU_CYCLE_1)
	s_and_not1_saveexec_b32 s0, s0
	s_cbranch_execz .LBB116_29
; %bb.28:
	ds_load_b128 v[10:13], v1 offset:224
	ds_load_b128 v[14:17], v1
	s_wait_dscnt 0x0
	v_add_f64_e32 v[10:11], v[10:11], v[14:15]
	v_add_f64_e32 v[12:13], v[12:13], v[16:17]
	ds_store_b128 v1, v[10:13]
	s_wait_dscnt 0x0
	ds_load_b128 v[10:13], v1
.LBB116_29:
	s_or_b32 exec_lo, exec_lo, s0
	s_wait_dscnt 0x0
	v_mov_b64_e32 v[16:17], v[12:13]
	v_mov_b64_e32 v[14:15], v[10:11]
.LBB116_30:
	v_cmp_gt_u32_e32 vcc_lo, 14, v0
	s_and_b32 exec_lo, exec_lo, vcc_lo
	s_cbranch_execz .LBB116_35
; %bb.31:
	s_wait_dscnt 0x0
	s_delay_alu instid0(VALU_DEP_3)
	v_mul_f64_e64 v[10:11], v[16:17], -v[8:9]
	v_mul_f64_e32 v[12:13], v[6:7], v[16:17]
	v_cmp_eq_f64_e32 vcc_lo, 0, v[2:3]
	v_cmp_eq_f64_e64 s0, 0, v[4:5]
	v_mad_u32 v0, s8, 14, v0
	v_fmac_f64_e32 v[10:11], v[6:7], v[14:15]
	v_fmac_f64_e32 v[12:13], v[8:9], v[14:15]
	s_and_b32 s0, vcc_lo, s0
	s_delay_alu instid0(SALU_CYCLE_1) | instskip(NEXT) | instid1(SALU_CYCLE_1)
	s_and_saveexec_b32 s1, s0
	s_xor_b32 s0, exec_lo, s1
	s_cbranch_execz .LBB116_33
; %bb.32:
	global_store_b128 v0, v[10:13], s[2:3] scale_offset
                                        ; implicit-def: $vgpr0
                                        ; implicit-def: $vgpr2_vgpr3
                                        ; implicit-def: $vgpr10_vgpr11
.LBB116_33:
	s_wait_xcnt 0x0
	s_and_not1_saveexec_b32 s0, s0
	s_cbranch_execz .LBB116_35
; %bb.34:
	global_load_b128 v[6:9], v0, s[2:3] scale_offset
	s_wait_loadcnt 0x0
	v_fmac_f64_e32 v[10:11], v[2:3], v[6:7]
	v_fmac_f64_e32 v[12:13], v[4:5], v[6:7]
	s_delay_alu instid0(VALU_DEP_2) | instskip(NEXT) | instid1(VALU_DEP_2)
	v_fma_f64 v[10:11], -v[4:5], v[8:9], v[10:11]
	v_fmac_f64_e32 v[12:13], v[2:3], v[8:9]
	global_store_b128 v0, v[10:13], s[2:3] scale_offset
.LBB116_35:
	s_endpgm
	.section	.rodata,"a",@progbits
	.p2align	6, 0x0
	.amdhsa_kernel _ZN9rocsparseL22gebsrmvn_mxn_16_kernelILj70ELj14ELj5E21rocsparse_complex_numIdEEEvi20rocsparse_direction_NS_24const_host_device_scalarIT2_EEPKiS8_PKS5_iiSA_S6_PS5_21rocsparse_index_base_b
		.amdhsa_group_segment_fixed_size 1120
		.amdhsa_private_segment_fixed_size 0
		.amdhsa_kernarg_size 96
		.amdhsa_user_sgpr_count 2
		.amdhsa_user_sgpr_dispatch_ptr 0
		.amdhsa_user_sgpr_queue_ptr 0
		.amdhsa_user_sgpr_kernarg_segment_ptr 1
		.amdhsa_user_sgpr_dispatch_id 0
		.amdhsa_user_sgpr_kernarg_preload_length 0
		.amdhsa_user_sgpr_kernarg_preload_offset 0
		.amdhsa_user_sgpr_private_segment_size 0
		.amdhsa_wavefront_size32 1
		.amdhsa_uses_dynamic_stack 0
		.amdhsa_enable_private_segment 0
		.amdhsa_system_sgpr_workgroup_id_x 1
		.amdhsa_system_sgpr_workgroup_id_y 0
		.amdhsa_system_sgpr_workgroup_id_z 0
		.amdhsa_system_sgpr_workgroup_info 0
		.amdhsa_system_vgpr_workitem_id 0
		.amdhsa_next_free_vgpr 26
		.amdhsa_next_free_sgpr 16
		.amdhsa_named_barrier_count 0
		.amdhsa_reserve_vcc 1
		.amdhsa_float_round_mode_32 0
		.amdhsa_float_round_mode_16_64 0
		.amdhsa_float_denorm_mode_32 3
		.amdhsa_float_denorm_mode_16_64 3
		.amdhsa_fp16_overflow 0
		.amdhsa_memory_ordered 1
		.amdhsa_forward_progress 1
		.amdhsa_inst_pref_size 11
		.amdhsa_round_robin_scheduling 0
		.amdhsa_exception_fp_ieee_invalid_op 0
		.amdhsa_exception_fp_denorm_src 0
		.amdhsa_exception_fp_ieee_div_zero 0
		.amdhsa_exception_fp_ieee_overflow 0
		.amdhsa_exception_fp_ieee_underflow 0
		.amdhsa_exception_fp_ieee_inexact 0
		.amdhsa_exception_int_div_zero 0
	.end_amdhsa_kernel
	.section	.text._ZN9rocsparseL22gebsrmvn_mxn_16_kernelILj70ELj14ELj5E21rocsparse_complex_numIdEEEvi20rocsparse_direction_NS_24const_host_device_scalarIT2_EEPKiS8_PKS5_iiSA_S6_PS5_21rocsparse_index_base_b,"axG",@progbits,_ZN9rocsparseL22gebsrmvn_mxn_16_kernelILj70ELj14ELj5E21rocsparse_complex_numIdEEEvi20rocsparse_direction_NS_24const_host_device_scalarIT2_EEPKiS8_PKS5_iiSA_S6_PS5_21rocsparse_index_base_b,comdat
.Lfunc_end116:
	.size	_ZN9rocsparseL22gebsrmvn_mxn_16_kernelILj70ELj14ELj5E21rocsparse_complex_numIdEEEvi20rocsparse_direction_NS_24const_host_device_scalarIT2_EEPKiS8_PKS5_iiSA_S6_PS5_21rocsparse_index_base_b, .Lfunc_end116-_ZN9rocsparseL22gebsrmvn_mxn_16_kernelILj70ELj14ELj5E21rocsparse_complex_numIdEEEvi20rocsparse_direction_NS_24const_host_device_scalarIT2_EEPKiS8_PKS5_iiSA_S6_PS5_21rocsparse_index_base_b
                                        ; -- End function
	.set _ZN9rocsparseL22gebsrmvn_mxn_16_kernelILj70ELj14ELj5E21rocsparse_complex_numIdEEEvi20rocsparse_direction_NS_24const_host_device_scalarIT2_EEPKiS8_PKS5_iiSA_S6_PS5_21rocsparse_index_base_b.num_vgpr, 26
	.set _ZN9rocsparseL22gebsrmvn_mxn_16_kernelILj70ELj14ELj5E21rocsparse_complex_numIdEEEvi20rocsparse_direction_NS_24const_host_device_scalarIT2_EEPKiS8_PKS5_iiSA_S6_PS5_21rocsparse_index_base_b.num_agpr, 0
	.set _ZN9rocsparseL22gebsrmvn_mxn_16_kernelILj70ELj14ELj5E21rocsparse_complex_numIdEEEvi20rocsparse_direction_NS_24const_host_device_scalarIT2_EEPKiS8_PKS5_iiSA_S6_PS5_21rocsparse_index_base_b.numbered_sgpr, 16
	.set _ZN9rocsparseL22gebsrmvn_mxn_16_kernelILj70ELj14ELj5E21rocsparse_complex_numIdEEEvi20rocsparse_direction_NS_24const_host_device_scalarIT2_EEPKiS8_PKS5_iiSA_S6_PS5_21rocsparse_index_base_b.num_named_barrier, 0
	.set _ZN9rocsparseL22gebsrmvn_mxn_16_kernelILj70ELj14ELj5E21rocsparse_complex_numIdEEEvi20rocsparse_direction_NS_24const_host_device_scalarIT2_EEPKiS8_PKS5_iiSA_S6_PS5_21rocsparse_index_base_b.private_seg_size, 0
	.set _ZN9rocsparseL22gebsrmvn_mxn_16_kernelILj70ELj14ELj5E21rocsparse_complex_numIdEEEvi20rocsparse_direction_NS_24const_host_device_scalarIT2_EEPKiS8_PKS5_iiSA_S6_PS5_21rocsparse_index_base_b.uses_vcc, 1
	.set _ZN9rocsparseL22gebsrmvn_mxn_16_kernelILj70ELj14ELj5E21rocsparse_complex_numIdEEEvi20rocsparse_direction_NS_24const_host_device_scalarIT2_EEPKiS8_PKS5_iiSA_S6_PS5_21rocsparse_index_base_b.uses_flat_scratch, 0
	.set _ZN9rocsparseL22gebsrmvn_mxn_16_kernelILj70ELj14ELj5E21rocsparse_complex_numIdEEEvi20rocsparse_direction_NS_24const_host_device_scalarIT2_EEPKiS8_PKS5_iiSA_S6_PS5_21rocsparse_index_base_b.has_dyn_sized_stack, 0
	.set _ZN9rocsparseL22gebsrmvn_mxn_16_kernelILj70ELj14ELj5E21rocsparse_complex_numIdEEEvi20rocsparse_direction_NS_24const_host_device_scalarIT2_EEPKiS8_PKS5_iiSA_S6_PS5_21rocsparse_index_base_b.has_recursion, 0
	.set _ZN9rocsparseL22gebsrmvn_mxn_16_kernelILj70ELj14ELj5E21rocsparse_complex_numIdEEEvi20rocsparse_direction_NS_24const_host_device_scalarIT2_EEPKiS8_PKS5_iiSA_S6_PS5_21rocsparse_index_base_b.has_indirect_call, 0
	.section	.AMDGPU.csdata,"",@progbits
; Kernel info:
; codeLenInByte = 1312
; TotalNumSgprs: 18
; NumVgprs: 26
; ScratchSize: 0
; MemoryBound: 0
; FloatMode: 240
; IeeeMode: 1
; LDSByteSize: 1120 bytes/workgroup (compile time only)
; SGPRBlocks: 0
; VGPRBlocks: 1
; NumSGPRsForWavesPerEU: 18
; NumVGPRsForWavesPerEU: 26
; NamedBarCnt: 0
; Occupancy: 16
; WaveLimiterHint : 1
; COMPUTE_PGM_RSRC2:SCRATCH_EN: 0
; COMPUTE_PGM_RSRC2:USER_SGPR: 2
; COMPUTE_PGM_RSRC2:TRAP_HANDLER: 0
; COMPUTE_PGM_RSRC2:TGID_X_EN: 1
; COMPUTE_PGM_RSRC2:TGID_Y_EN: 0
; COMPUTE_PGM_RSRC2:TGID_Z_EN: 0
; COMPUTE_PGM_RSRC2:TIDIG_COMP_CNT: 0
	.section	.text._ZN9rocsparseL22gebsrmvn_mxn_16_kernelILj84ELj14ELj6E21rocsparse_complex_numIdEEEvi20rocsparse_direction_NS_24const_host_device_scalarIT2_EEPKiS8_PKS5_iiSA_S6_PS5_21rocsparse_index_base_b,"axG",@progbits,_ZN9rocsparseL22gebsrmvn_mxn_16_kernelILj84ELj14ELj6E21rocsparse_complex_numIdEEEvi20rocsparse_direction_NS_24const_host_device_scalarIT2_EEPKiS8_PKS5_iiSA_S6_PS5_21rocsparse_index_base_b,comdat
	.globl	_ZN9rocsparseL22gebsrmvn_mxn_16_kernelILj84ELj14ELj6E21rocsparse_complex_numIdEEEvi20rocsparse_direction_NS_24const_host_device_scalarIT2_EEPKiS8_PKS5_iiSA_S6_PS5_21rocsparse_index_base_b ; -- Begin function _ZN9rocsparseL22gebsrmvn_mxn_16_kernelILj84ELj14ELj6E21rocsparse_complex_numIdEEEvi20rocsparse_direction_NS_24const_host_device_scalarIT2_EEPKiS8_PKS5_iiSA_S6_PS5_21rocsparse_index_base_b
	.p2align	8
	.type	_ZN9rocsparseL22gebsrmvn_mxn_16_kernelILj84ELj14ELj6E21rocsparse_complex_numIdEEEvi20rocsparse_direction_NS_24const_host_device_scalarIT2_EEPKiS8_PKS5_iiSA_S6_PS5_21rocsparse_index_base_b,@function
_ZN9rocsparseL22gebsrmvn_mxn_16_kernelILj84ELj14ELj6E21rocsparse_complex_numIdEEEvi20rocsparse_direction_NS_24const_host_device_scalarIT2_EEPKiS8_PKS5_iiSA_S6_PS5_21rocsparse_index_base_b: ; @_ZN9rocsparseL22gebsrmvn_mxn_16_kernelILj84ELj14ELj6E21rocsparse_complex_numIdEEEvi20rocsparse_direction_NS_24const_host_device_scalarIT2_EEPKiS8_PKS5_iiSA_S6_PS5_21rocsparse_index_base_b
; %bb.0:
	s_clause 0x1
	s_load_b64 s[10:11], s[0:1], 0x58
	s_load_b64 s[2:3], s[0:1], 0x8
	v_mov_b32_e32 v1, 0
	s_add_nc_u64 s[4:5], s[0:1], 8
	s_load_b64 s[6:7], s[0:1], 0x40
	s_wait_kmcnt 0x0
	s_bitcmp1_b32 s11, 0
	s_cselect_b32 s3, s5, s3
	s_cselect_b32 s2, s4, s2
	flat_load_b128 v[6:9], v1, s[2:3]
	s_wait_xcnt 0x0
	s_add_nc_u64 s[2:3], s[0:1], 64
	s_delay_alu instid0(SALU_CYCLE_1)
	s_cselect_b32 s3, s3, s7
	s_cselect_b32 s2, s2, s6
	flat_load_b128 v[2:5], v1, s[2:3]
	s_wait_loadcnt_dscnt 0x101
	v_cmp_eq_f64_e32 vcc_lo, 0, v[6:7]
	s_wait_xcnt 0x0
	v_cmp_eq_f64_e64 s2, 0, v[8:9]
	s_and_b32 s4, vcc_lo, s2
	s_mov_b32 s2, -1
	s_and_saveexec_b32 s3, s4
	s_cbranch_execz .LBB117_2
; %bb.1:
	s_wait_loadcnt_dscnt 0x0
	v_cmp_neq_f64_e32 vcc_lo, 1.0, v[2:3]
	v_cmp_neq_f64_e64 s2, 0, v[4:5]
	s_or_b32 s2, vcc_lo, s2
	s_delay_alu instid0(SALU_CYCLE_1)
	s_or_not1_b32 s2, s2, exec_lo
.LBB117_2:
	s_or_b32 exec_lo, exec_lo, s3
	s_and_saveexec_b32 s3, s2
	s_cbranch_execz .LBB117_35
; %bb.3:
	v_mul_u32_u24_e32 v1, 0x2aab, v0
	s_clause 0x1
	s_load_b32 s4, s[0:1], 0x4
	s_load_b64 s[2:3], s[0:1], 0x18
	v_and_b32_e32 v15, 0xffff, v0
	v_lshrrev_b32_e32 v1, 16, v1
	s_delay_alu instid0(VALU_DEP_1) | instskip(NEXT) | instid1(VALU_DEP_1)
	v_mul_lo_u16 v1, v1, 6
	v_sub_nc_u16 v1, v0, v1
	s_delay_alu instid0(VALU_DEP_1) | instskip(SKIP_3) | instid1(SALU_CYCLE_1)
	v_and_b32_e32 v14, 0xffff, v1
	s_wait_kmcnt 0x0
	s_cmp_lg_u32 s4, 1
	s_cselect_b32 s11, -1, 0
	s_and_b32 vcc_lo, exec_lo, s11
	v_mov_b32_e32 v1, v14
	s_cbranch_vccnz .LBB117_5
; %bb.4:
	v_mul_u32_u24_e32 v1, 0x124a, v15
	s_delay_alu instid0(VALU_DEP_1) | instskip(NEXT) | instid1(VALU_DEP_1)
	v_lshrrev_b32_e32 v1, 16, v1
	v_mul_lo_u16 v10, v1, 43
	s_delay_alu instid0(VALU_DEP_1) | instskip(NEXT) | instid1(VALU_DEP_1)
	v_lshrrev_b16 v10, 8, v10
	v_mul_lo_u16 v10, v10, 6
	s_delay_alu instid0(VALU_DEP_1) | instskip(NEXT) | instid1(VALU_DEP_1)
	v_sub_nc_u16 v1, v1, v10
	v_and_b32_e32 v1, 0xff, v1
.LBB117_5:
	s_bfe_u32 s4, ttmp6, 0x4000c
	s_and_b32 s5, ttmp6, 15
	s_add_co_i32 s4, s4, 1
	s_getreg_b32 s6, hwreg(HW_REG_IB_STS2, 6, 4)
	s_mul_i32 s4, ttmp9, s4
	v_mov_b64_e32 v[12:13], 0
	s_add_co_i32 s5, s5, s4
	s_cmp_eq_u32 s6, 0
	v_mov_b64_e32 v[10:11], 0
	s_cselect_b32 s8, ttmp9, s5
	s_delay_alu instid0(SALU_CYCLE_1) | instskip(NEXT) | instid1(SALU_CYCLE_1)
	s_ashr_i32 s9, s8, 31
	s_lshl_b64 s[4:5], s[8:9], 2
	s_delay_alu instid0(SALU_CYCLE_1)
	s_add_nc_u64 s[4:5], s[2:3], s[4:5]
	s_load_b64 s[14:15], s[4:5], 0x0
	s_load_b64 s[2:3], s[0:1], 0x50
	s_wait_kmcnt 0x0
	s_cmp_ge_i32 s14, s15
	s_cbranch_scc1 .LBB117_10
; %bb.6:
	s_clause 0x1
	s_load_b128 s[4:7], s[0:1], 0x20
	s_load_b64 s[12:13], s[0:1], 0x38
	v_mad_u32 v10, 0x54, s14, v0
	v_mov_b64_e32 v[12:13], 0
	v_mul_u32_u24_e32 v11, 0x30d, v15
	s_wait_xcnt 0x0
	s_mul_i32 s0, s10, 0x54
	s_sub_co_i32 s1, s14, s10
	s_delay_alu instid0(VALU_DEP_1) | instskip(NEXT) | instid1(VALU_DEP_4)
	v_lshrrev_b32_e32 v15, 16, v11
	v_subrev_nc_u32_e32 v16, s0, v10
	v_mov_b64_e32 v[10:11], v[12:13]
	s_sub_co_i32 s0, s15, s10
	s_branch .LBB117_8
.LBB117_7:                              ;   in Loop: Header=BB117_8 Depth=1
	s_or_b32 exec_lo, exec_lo, s9
	v_add_nc_u32_e32 v16, 0x54, v16
	s_add_co_i32 s1, s1, 1
	s_delay_alu instid0(SALU_CYCLE_1)
	s_cmp_ge_i32 s1, s0
	s_cbranch_scc1 .LBB117_10
.LBB117_8:                              ; =>This Inner Loop Header: Depth=1
	v_add_nc_u32_e32 v17, s1, v15
	s_mov_b32 s9, exec_lo
	s_delay_alu instid0(VALU_DEP_1)
	v_cmpx_gt_i32_e64 s0, v17
	s_cbranch_execz .LBB117_7
; %bb.9:                                ;   in Loop: Header=BB117_8 Depth=1
	s_wait_kmcnt 0x0
	global_load_b32 v17, v17, s[4:5] scale_offset
	s_wait_loadcnt 0x0
	v_subrev_nc_u32_e32 v17, s10, v17
	s_delay_alu instid0(VALU_DEP_1)
	v_mad_u32 v17, v17, 6, v1
	global_load_b128 v[18:21], v16, s[6:7] scale_offset
	global_load_b128 v[22:25], v17, s[12:13] scale_offset
	s_wait_loadcnt 0x0
	v_fmac_f64_e32 v[10:11], v[18:19], v[22:23]
	v_fmac_f64_e32 v[12:13], v[20:21], v[22:23]
	s_delay_alu instid0(VALU_DEP_2) | instskip(NEXT) | instid1(VALU_DEP_2)
	v_fma_f64 v[10:11], -v[20:21], v[24:25], v[10:11]
	v_fmac_f64_e32 v[12:13], v[18:19], v[24:25]
	s_branch .LBB117_7
.LBB117_10:
	v_lshlrev_b32_e32 v1, 4, v0
	s_and_b32 vcc_lo, exec_lo, s11
	ds_store_b128 v1, v[10:13]
	s_wait_loadcnt_dscnt 0x0
	s_barrier_signal -1
	s_barrier_wait -1
	s_cbranch_vccz .LBB117_20
; %bb.11:
	v_cmp_gt_u16_e32 vcc_lo, 2, v14
	s_and_saveexec_b32 s0, vcc_lo
	s_cbranch_execz .LBB117_13
; %bb.12:
	ds_load_b128 v[16:19], v1 offset:64
	ds_load_b128 v[20:23], v1
	s_wait_dscnt 0x0
	v_add_f64_e32 v[16:17], v[16:17], v[20:21]
	v_add_f64_e32 v[18:19], v[18:19], v[22:23]
	ds_store_b128 v1, v[16:19]
.LBB117_13:
	s_or_b32 exec_lo, exec_lo, s0
	s_wait_dscnt 0x0
	s_barrier_signal -1
	s_barrier_wait -1
	s_and_saveexec_b32 s0, vcc_lo
	s_cbranch_execz .LBB117_15
; %bb.14:
	ds_load_b128 v[16:19], v1
	ds_load_b128 v[20:23], v1 offset:32
	s_wait_dscnt 0x0
	v_add_f64_e32 v[16:17], v[20:21], v[16:17]
	v_add_f64_e32 v[18:19], v[22:23], v[18:19]
	ds_store_b128 v1, v[16:19]
.LBB117_15:
	s_or_b32 exec_lo, exec_lo, s0
	s_delay_alu instid0(SALU_CYCLE_1)
	s_mov_b32 s0, exec_lo
	s_wait_dscnt 0x0
	s_barrier_signal -1
	s_barrier_wait -1
	v_cmpx_eq_u16_e32 0, v14
	s_cbranch_execz .LBB117_17
; %bb.16:
	ds_load_b128 v[14:17], v1
	ds_load_b128 v[18:21], v1 offset:16
	s_wait_dscnt 0x0
	v_add_f64_e32 v[14:15], v[18:19], v[14:15]
	v_add_f64_e32 v[16:17], v[20:21], v[16:17]
	ds_store_b128 v1, v[14:17]
.LBB117_17:
	s_or_b32 exec_lo, exec_lo, s0
	v_mov_b64_e32 v[16:17], v[12:13]
	v_mov_b64_e32 v[14:15], v[10:11]
	s_mov_b32 s0, exec_lo
	s_wait_dscnt 0x0
	s_barrier_signal -1
	s_barrier_wait -1
	v_cmpx_gt_u32_e32 14, v0
; %bb.18:
	v_mad_u32_u24 v14, 0x50, v0, v1
	ds_load_b128 v[14:17], v14
; %bb.19:
	s_or_b32 exec_lo, exec_lo, s0
	s_branch .LBB117_30
.LBB117_20:
                                        ; implicit-def: $vgpr16_vgpr17
	s_cbranch_execz .LBB117_30
; %bb.21:
	v_cmp_gt_u32_e32 vcc_lo, 28, v0
	s_and_saveexec_b32 s0, vcc_lo
	s_cbranch_execz .LBB117_23
; %bb.22:
	s_wait_dscnt 0x0
	ds_load_b128 v[14:17], v1 offset:896
	ds_load_b128 v[18:21], v1
	s_wait_dscnt 0x0
	v_add_f64_e32 v[14:15], v[14:15], v[18:19]
	v_add_f64_e32 v[16:17], v[16:17], v[20:21]
	ds_store_b128 v1, v[14:17]
.LBB117_23:
	s_or_b32 exec_lo, exec_lo, s0
	s_wait_dscnt 0x0
	s_barrier_signal -1
	s_barrier_wait -1
	s_and_saveexec_b32 s0, vcc_lo
	s_cbranch_execz .LBB117_25
; %bb.24:
	ds_load_b128 v[14:17], v1 offset:448
	ds_load_b128 v[18:21], v1
	s_wait_dscnt 0x0
	v_add_f64_e32 v[14:15], v[14:15], v[18:19]
	v_add_f64_e32 v[16:17], v[16:17], v[20:21]
	ds_store_b128 v1, v[14:17]
.LBB117_25:
	s_or_b32 exec_lo, exec_lo, s0
	s_delay_alu instid0(SALU_CYCLE_1)
	s_mov_b32 s0, exec_lo
	s_wait_dscnt 0x0
	v_cmpx_lt_u32_e32 13, v0
	s_xor_b32 s0, exec_lo, s0
; %bb.26:
                                        ; implicit-def: $vgpr1
; %bb.27:
	s_delay_alu instid0(SALU_CYCLE_1)
	s_and_not1_saveexec_b32 s0, s0
	s_cbranch_execz .LBB117_29
; %bb.28:
	ds_load_b128 v[10:13], v1 offset:224
	ds_load_b128 v[14:17], v1
	s_wait_dscnt 0x0
	v_add_f64_e32 v[10:11], v[10:11], v[14:15]
	v_add_f64_e32 v[12:13], v[12:13], v[16:17]
	ds_store_b128 v1, v[10:13]
	s_wait_dscnt 0x0
	ds_load_b128 v[10:13], v1
.LBB117_29:
	s_or_b32 exec_lo, exec_lo, s0
	s_wait_dscnt 0x0
	v_mov_b64_e32 v[16:17], v[12:13]
	v_mov_b64_e32 v[14:15], v[10:11]
.LBB117_30:
	v_cmp_gt_u32_e32 vcc_lo, 14, v0
	s_and_b32 exec_lo, exec_lo, vcc_lo
	s_cbranch_execz .LBB117_35
; %bb.31:
	s_wait_dscnt 0x0
	s_delay_alu instid0(VALU_DEP_3)
	v_mul_f64_e64 v[10:11], v[16:17], -v[8:9]
	v_mul_f64_e32 v[12:13], v[6:7], v[16:17]
	v_cmp_eq_f64_e32 vcc_lo, 0, v[2:3]
	v_cmp_eq_f64_e64 s0, 0, v[4:5]
	v_mad_u32 v0, s8, 14, v0
	v_fmac_f64_e32 v[10:11], v[6:7], v[14:15]
	v_fmac_f64_e32 v[12:13], v[8:9], v[14:15]
	s_and_b32 s0, vcc_lo, s0
	s_delay_alu instid0(SALU_CYCLE_1) | instskip(NEXT) | instid1(SALU_CYCLE_1)
	s_and_saveexec_b32 s1, s0
	s_xor_b32 s0, exec_lo, s1
	s_cbranch_execz .LBB117_33
; %bb.32:
	global_store_b128 v0, v[10:13], s[2:3] scale_offset
                                        ; implicit-def: $vgpr0
                                        ; implicit-def: $vgpr2_vgpr3
                                        ; implicit-def: $vgpr10_vgpr11
.LBB117_33:
	s_wait_xcnt 0x0
	s_and_not1_saveexec_b32 s0, s0
	s_cbranch_execz .LBB117_35
; %bb.34:
	global_load_b128 v[6:9], v0, s[2:3] scale_offset
	s_wait_loadcnt 0x0
	v_fmac_f64_e32 v[10:11], v[2:3], v[6:7]
	v_fmac_f64_e32 v[12:13], v[4:5], v[6:7]
	s_delay_alu instid0(VALU_DEP_2) | instskip(NEXT) | instid1(VALU_DEP_2)
	v_fma_f64 v[10:11], -v[4:5], v[8:9], v[10:11]
	v_fmac_f64_e32 v[12:13], v[2:3], v[8:9]
	global_store_b128 v0, v[10:13], s[2:3] scale_offset
.LBB117_35:
	s_endpgm
	.section	.rodata,"a",@progbits
	.p2align	6, 0x0
	.amdhsa_kernel _ZN9rocsparseL22gebsrmvn_mxn_16_kernelILj84ELj14ELj6E21rocsparse_complex_numIdEEEvi20rocsparse_direction_NS_24const_host_device_scalarIT2_EEPKiS8_PKS5_iiSA_S6_PS5_21rocsparse_index_base_b
		.amdhsa_group_segment_fixed_size 1344
		.amdhsa_private_segment_fixed_size 0
		.amdhsa_kernarg_size 96
		.amdhsa_user_sgpr_count 2
		.amdhsa_user_sgpr_dispatch_ptr 0
		.amdhsa_user_sgpr_queue_ptr 0
		.amdhsa_user_sgpr_kernarg_segment_ptr 1
		.amdhsa_user_sgpr_dispatch_id 0
		.amdhsa_user_sgpr_kernarg_preload_length 0
		.amdhsa_user_sgpr_kernarg_preload_offset 0
		.amdhsa_user_sgpr_private_segment_size 0
		.amdhsa_wavefront_size32 1
		.amdhsa_uses_dynamic_stack 0
		.amdhsa_enable_private_segment 0
		.amdhsa_system_sgpr_workgroup_id_x 1
		.amdhsa_system_sgpr_workgroup_id_y 0
		.amdhsa_system_sgpr_workgroup_id_z 0
		.amdhsa_system_sgpr_workgroup_info 0
		.amdhsa_system_vgpr_workitem_id 0
		.amdhsa_next_free_vgpr 26
		.amdhsa_next_free_sgpr 16
		.amdhsa_named_barrier_count 0
		.amdhsa_reserve_vcc 1
		.amdhsa_float_round_mode_32 0
		.amdhsa_float_round_mode_16_64 0
		.amdhsa_float_denorm_mode_32 3
		.amdhsa_float_denorm_mode_16_64 3
		.amdhsa_fp16_overflow 0
		.amdhsa_memory_ordered 1
		.amdhsa_forward_progress 1
		.amdhsa_inst_pref_size 11
		.amdhsa_round_robin_scheduling 0
		.amdhsa_exception_fp_ieee_invalid_op 0
		.amdhsa_exception_fp_denorm_src 0
		.amdhsa_exception_fp_ieee_div_zero 0
		.amdhsa_exception_fp_ieee_overflow 0
		.amdhsa_exception_fp_ieee_underflow 0
		.amdhsa_exception_fp_ieee_inexact 0
		.amdhsa_exception_int_div_zero 0
	.end_amdhsa_kernel
	.section	.text._ZN9rocsparseL22gebsrmvn_mxn_16_kernelILj84ELj14ELj6E21rocsparse_complex_numIdEEEvi20rocsparse_direction_NS_24const_host_device_scalarIT2_EEPKiS8_PKS5_iiSA_S6_PS5_21rocsparse_index_base_b,"axG",@progbits,_ZN9rocsparseL22gebsrmvn_mxn_16_kernelILj84ELj14ELj6E21rocsparse_complex_numIdEEEvi20rocsparse_direction_NS_24const_host_device_scalarIT2_EEPKiS8_PKS5_iiSA_S6_PS5_21rocsparse_index_base_b,comdat
.Lfunc_end117:
	.size	_ZN9rocsparseL22gebsrmvn_mxn_16_kernelILj84ELj14ELj6E21rocsparse_complex_numIdEEEvi20rocsparse_direction_NS_24const_host_device_scalarIT2_EEPKiS8_PKS5_iiSA_S6_PS5_21rocsparse_index_base_b, .Lfunc_end117-_ZN9rocsparseL22gebsrmvn_mxn_16_kernelILj84ELj14ELj6E21rocsparse_complex_numIdEEEvi20rocsparse_direction_NS_24const_host_device_scalarIT2_EEPKiS8_PKS5_iiSA_S6_PS5_21rocsparse_index_base_b
                                        ; -- End function
	.set _ZN9rocsparseL22gebsrmvn_mxn_16_kernelILj84ELj14ELj6E21rocsparse_complex_numIdEEEvi20rocsparse_direction_NS_24const_host_device_scalarIT2_EEPKiS8_PKS5_iiSA_S6_PS5_21rocsparse_index_base_b.num_vgpr, 26
	.set _ZN9rocsparseL22gebsrmvn_mxn_16_kernelILj84ELj14ELj6E21rocsparse_complex_numIdEEEvi20rocsparse_direction_NS_24const_host_device_scalarIT2_EEPKiS8_PKS5_iiSA_S6_PS5_21rocsparse_index_base_b.num_agpr, 0
	.set _ZN9rocsparseL22gebsrmvn_mxn_16_kernelILj84ELj14ELj6E21rocsparse_complex_numIdEEEvi20rocsparse_direction_NS_24const_host_device_scalarIT2_EEPKiS8_PKS5_iiSA_S6_PS5_21rocsparse_index_base_b.numbered_sgpr, 16
	.set _ZN9rocsparseL22gebsrmvn_mxn_16_kernelILj84ELj14ELj6E21rocsparse_complex_numIdEEEvi20rocsparse_direction_NS_24const_host_device_scalarIT2_EEPKiS8_PKS5_iiSA_S6_PS5_21rocsparse_index_base_b.num_named_barrier, 0
	.set _ZN9rocsparseL22gebsrmvn_mxn_16_kernelILj84ELj14ELj6E21rocsparse_complex_numIdEEEvi20rocsparse_direction_NS_24const_host_device_scalarIT2_EEPKiS8_PKS5_iiSA_S6_PS5_21rocsparse_index_base_b.private_seg_size, 0
	.set _ZN9rocsparseL22gebsrmvn_mxn_16_kernelILj84ELj14ELj6E21rocsparse_complex_numIdEEEvi20rocsparse_direction_NS_24const_host_device_scalarIT2_EEPKiS8_PKS5_iiSA_S6_PS5_21rocsparse_index_base_b.uses_vcc, 1
	.set _ZN9rocsparseL22gebsrmvn_mxn_16_kernelILj84ELj14ELj6E21rocsparse_complex_numIdEEEvi20rocsparse_direction_NS_24const_host_device_scalarIT2_EEPKiS8_PKS5_iiSA_S6_PS5_21rocsparse_index_base_b.uses_flat_scratch, 0
	.set _ZN9rocsparseL22gebsrmvn_mxn_16_kernelILj84ELj14ELj6E21rocsparse_complex_numIdEEEvi20rocsparse_direction_NS_24const_host_device_scalarIT2_EEPKiS8_PKS5_iiSA_S6_PS5_21rocsparse_index_base_b.has_dyn_sized_stack, 0
	.set _ZN9rocsparseL22gebsrmvn_mxn_16_kernelILj84ELj14ELj6E21rocsparse_complex_numIdEEEvi20rocsparse_direction_NS_24const_host_device_scalarIT2_EEPKiS8_PKS5_iiSA_S6_PS5_21rocsparse_index_base_b.has_recursion, 0
	.set _ZN9rocsparseL22gebsrmvn_mxn_16_kernelILj84ELj14ELj6E21rocsparse_complex_numIdEEEvi20rocsparse_direction_NS_24const_host_device_scalarIT2_EEPKiS8_PKS5_iiSA_S6_PS5_21rocsparse_index_base_b.has_indirect_call, 0
	.section	.AMDGPU.csdata,"",@progbits
; Kernel info:
; codeLenInByte = 1296
; TotalNumSgprs: 18
; NumVgprs: 26
; ScratchSize: 0
; MemoryBound: 0
; FloatMode: 240
; IeeeMode: 1
; LDSByteSize: 1344 bytes/workgroup (compile time only)
; SGPRBlocks: 0
; VGPRBlocks: 1
; NumSGPRsForWavesPerEU: 18
; NumVGPRsForWavesPerEU: 26
; NamedBarCnt: 0
; Occupancy: 16
; WaveLimiterHint : 1
; COMPUTE_PGM_RSRC2:SCRATCH_EN: 0
; COMPUTE_PGM_RSRC2:USER_SGPR: 2
; COMPUTE_PGM_RSRC2:TRAP_HANDLER: 0
; COMPUTE_PGM_RSRC2:TGID_X_EN: 1
; COMPUTE_PGM_RSRC2:TGID_Y_EN: 0
; COMPUTE_PGM_RSRC2:TGID_Z_EN: 0
; COMPUTE_PGM_RSRC2:TIDIG_COMP_CNT: 0
	.section	.text._ZN9rocsparseL22gebsrmvn_mxn_16_kernelILj98ELj14ELj7E21rocsparse_complex_numIdEEEvi20rocsparse_direction_NS_24const_host_device_scalarIT2_EEPKiS8_PKS5_iiSA_S6_PS5_21rocsparse_index_base_b,"axG",@progbits,_ZN9rocsparseL22gebsrmvn_mxn_16_kernelILj98ELj14ELj7E21rocsparse_complex_numIdEEEvi20rocsparse_direction_NS_24const_host_device_scalarIT2_EEPKiS8_PKS5_iiSA_S6_PS5_21rocsparse_index_base_b,comdat
	.globl	_ZN9rocsparseL22gebsrmvn_mxn_16_kernelILj98ELj14ELj7E21rocsparse_complex_numIdEEEvi20rocsparse_direction_NS_24const_host_device_scalarIT2_EEPKiS8_PKS5_iiSA_S6_PS5_21rocsparse_index_base_b ; -- Begin function _ZN9rocsparseL22gebsrmvn_mxn_16_kernelILj98ELj14ELj7E21rocsparse_complex_numIdEEEvi20rocsparse_direction_NS_24const_host_device_scalarIT2_EEPKiS8_PKS5_iiSA_S6_PS5_21rocsparse_index_base_b
	.p2align	8
	.type	_ZN9rocsparseL22gebsrmvn_mxn_16_kernelILj98ELj14ELj7E21rocsparse_complex_numIdEEEvi20rocsparse_direction_NS_24const_host_device_scalarIT2_EEPKiS8_PKS5_iiSA_S6_PS5_21rocsparse_index_base_b,@function
_ZN9rocsparseL22gebsrmvn_mxn_16_kernelILj98ELj14ELj7E21rocsparse_complex_numIdEEEvi20rocsparse_direction_NS_24const_host_device_scalarIT2_EEPKiS8_PKS5_iiSA_S6_PS5_21rocsparse_index_base_b: ; @_ZN9rocsparseL22gebsrmvn_mxn_16_kernelILj98ELj14ELj7E21rocsparse_complex_numIdEEEvi20rocsparse_direction_NS_24const_host_device_scalarIT2_EEPKiS8_PKS5_iiSA_S6_PS5_21rocsparse_index_base_b
; %bb.0:
	s_clause 0x1
	s_load_b64 s[10:11], s[0:1], 0x58
	s_load_b64 s[2:3], s[0:1], 0x8
	v_mov_b32_e32 v1, 0
	s_add_nc_u64 s[4:5], s[0:1], 8
	s_load_b64 s[6:7], s[0:1], 0x40
	s_wait_kmcnt 0x0
	s_bitcmp1_b32 s11, 0
	s_cselect_b32 s3, s5, s3
	s_cselect_b32 s2, s4, s2
	flat_load_b128 v[6:9], v1, s[2:3]
	s_wait_xcnt 0x0
	s_add_nc_u64 s[2:3], s[0:1], 64
	s_delay_alu instid0(SALU_CYCLE_1)
	s_cselect_b32 s3, s3, s7
	s_cselect_b32 s2, s2, s6
	flat_load_b128 v[2:5], v1, s[2:3]
	s_wait_loadcnt_dscnt 0x101
	v_cmp_eq_f64_e32 vcc_lo, 0, v[6:7]
	s_wait_xcnt 0x0
	v_cmp_eq_f64_e64 s2, 0, v[8:9]
	s_and_b32 s4, vcc_lo, s2
	s_mov_b32 s2, -1
	s_and_saveexec_b32 s3, s4
	s_cbranch_execz .LBB118_2
; %bb.1:
	s_wait_loadcnt_dscnt 0x0
	v_cmp_neq_f64_e32 vcc_lo, 1.0, v[2:3]
	v_cmp_neq_f64_e64 s2, 0, v[4:5]
	s_or_b32 s2, vcc_lo, s2
	s_delay_alu instid0(SALU_CYCLE_1)
	s_or_not1_b32 s2, s2, exec_lo
.LBB118_2:
	s_or_b32 exec_lo, exec_lo, s3
	s_and_saveexec_b32 s3, s2
	s_cbranch_execz .LBB118_35
; %bb.3:
	v_mul_u32_u24_e32 v1, 0x2493, v0
	s_clause 0x1
	s_load_b32 s4, s[0:1], 0x4
	s_load_b64 s[2:3], s[0:1], 0x18
	v_and_b32_e32 v15, 0xffff, v0
	v_lshrrev_b32_e32 v1, 16, v1
	s_delay_alu instid0(VALU_DEP_1) | instskip(NEXT) | instid1(VALU_DEP_1)
	v_mul_lo_u16 v1, v1, 7
	v_sub_nc_u16 v1, v0, v1
	s_delay_alu instid0(VALU_DEP_1) | instskip(SKIP_3) | instid1(SALU_CYCLE_1)
	v_and_b32_e32 v14, 0xffff, v1
	s_wait_kmcnt 0x0
	s_cmp_lg_u32 s4, 1
	s_cselect_b32 s11, -1, 0
	s_and_b32 vcc_lo, exec_lo, s11
	v_mov_b32_e32 v1, v14
	s_cbranch_vccnz .LBB118_5
; %bb.4:
	v_mul_u32_u24_e32 v1, 0x124a, v15
	s_delay_alu instid0(VALU_DEP_1) | instskip(NEXT) | instid1(VALU_DEP_1)
	v_lshrrev_b32_e32 v1, 16, v1
	v_mul_lo_u16 v10, v1, 37
	s_delay_alu instid0(VALU_DEP_1) | instskip(NEXT) | instid1(VALU_DEP_1)
	v_lshrrev_b16 v10, 8, v10
	v_mul_lo_u16 v10, v10, 7
	s_delay_alu instid0(VALU_DEP_1) | instskip(NEXT) | instid1(VALU_DEP_1)
	v_sub_nc_u16 v1, v1, v10
	v_and_b32_e32 v1, 0xff, v1
.LBB118_5:
	s_bfe_u32 s4, ttmp6, 0x4000c
	s_and_b32 s5, ttmp6, 15
	s_add_co_i32 s4, s4, 1
	s_getreg_b32 s6, hwreg(HW_REG_IB_STS2, 6, 4)
	s_mul_i32 s4, ttmp9, s4
	v_mov_b64_e32 v[12:13], 0
	s_add_co_i32 s5, s5, s4
	s_cmp_eq_u32 s6, 0
	v_mov_b64_e32 v[10:11], 0
	s_cselect_b32 s8, ttmp9, s5
	s_delay_alu instid0(SALU_CYCLE_1) | instskip(NEXT) | instid1(SALU_CYCLE_1)
	s_ashr_i32 s9, s8, 31
	s_lshl_b64 s[4:5], s[8:9], 2
	s_delay_alu instid0(SALU_CYCLE_1)
	s_add_nc_u64 s[4:5], s[2:3], s[4:5]
	s_load_b64 s[14:15], s[4:5], 0x0
	s_load_b64 s[2:3], s[0:1], 0x50
	s_wait_kmcnt 0x0
	s_cmp_ge_i32 s14, s15
	s_cbranch_scc1 .LBB118_10
; %bb.6:
	s_clause 0x1
	s_load_b128 s[4:7], s[0:1], 0x20
	s_load_b64 s[12:13], s[0:1], 0x38
	v_mad_u32 v10, 0x62, s14, v0
	v_mov_b64_e32 v[12:13], 0
	v_mul_u32_u24_e32 v11, 0x29d, v15
	s_wait_xcnt 0x0
	s_mul_i32 s0, s10, 0x62
	s_sub_co_i32 s1, s14, s10
	s_delay_alu instid0(VALU_DEP_1) | instskip(NEXT) | instid1(VALU_DEP_4)
	v_lshrrev_b32_e32 v15, 16, v11
	v_subrev_nc_u32_e32 v16, s0, v10
	v_mov_b64_e32 v[10:11], v[12:13]
	s_sub_co_i32 s0, s15, s10
	s_branch .LBB118_8
.LBB118_7:                              ;   in Loop: Header=BB118_8 Depth=1
	s_or_b32 exec_lo, exec_lo, s9
	v_add_nc_u32_e32 v16, 0x62, v16
	s_add_co_i32 s1, s1, 1
	s_delay_alu instid0(SALU_CYCLE_1)
	s_cmp_ge_i32 s1, s0
	s_cbranch_scc1 .LBB118_10
.LBB118_8:                              ; =>This Inner Loop Header: Depth=1
	v_add_nc_u32_e32 v17, s1, v15
	s_mov_b32 s9, exec_lo
	s_delay_alu instid0(VALU_DEP_1)
	v_cmpx_gt_i32_e64 s0, v17
	s_cbranch_execz .LBB118_7
; %bb.9:                                ;   in Loop: Header=BB118_8 Depth=1
	s_wait_kmcnt 0x0
	global_load_b32 v17, v17, s[4:5] scale_offset
	s_wait_loadcnt 0x0
	v_subrev_nc_u32_e32 v17, s10, v17
	s_delay_alu instid0(VALU_DEP_1)
	v_mad_u32 v17, v17, 7, v1
	global_load_b128 v[18:21], v16, s[6:7] scale_offset
	global_load_b128 v[22:25], v17, s[12:13] scale_offset
	s_wait_loadcnt 0x0
	v_fmac_f64_e32 v[10:11], v[18:19], v[22:23]
	v_fmac_f64_e32 v[12:13], v[20:21], v[22:23]
	s_delay_alu instid0(VALU_DEP_2) | instskip(NEXT) | instid1(VALU_DEP_2)
	v_fma_f64 v[10:11], -v[20:21], v[24:25], v[10:11]
	v_fmac_f64_e32 v[12:13], v[18:19], v[24:25]
	s_branch .LBB118_7
.LBB118_10:
	v_lshlrev_b32_e32 v1, 4, v0
	s_and_b32 vcc_lo, exec_lo, s11
	ds_store_b128 v1, v[10:13]
	s_wait_loadcnt_dscnt 0x0
	s_barrier_signal -1
	s_barrier_wait -1
	s_cbranch_vccz .LBB118_20
; %bb.11:
	s_mov_b32 s0, exec_lo
	v_cmpx_gt_u16_e32 3, v14
	s_cbranch_execz .LBB118_13
; %bb.12:
	ds_load_b128 v[16:19], v1 offset:64
	ds_load_b128 v[20:23], v1
	s_wait_dscnt 0x0
	v_add_f64_e32 v[16:17], v[16:17], v[20:21]
	v_add_f64_e32 v[18:19], v[18:19], v[22:23]
	ds_store_b128 v1, v[16:19]
.LBB118_13:
	s_or_b32 exec_lo, exec_lo, s0
	s_delay_alu instid0(SALU_CYCLE_1)
	s_mov_b32 s0, exec_lo
	s_wait_dscnt 0x0
	s_barrier_signal -1
	s_barrier_wait -1
	v_cmpx_gt_u16_e32 2, v14
	s_cbranch_execz .LBB118_15
; %bb.14:
	ds_load_b128 v[16:19], v1
	ds_load_b128 v[20:23], v1 offset:32
	s_wait_dscnt 0x0
	v_add_f64_e32 v[16:17], v[20:21], v[16:17]
	v_add_f64_e32 v[18:19], v[22:23], v[18:19]
	ds_store_b128 v1, v[16:19]
.LBB118_15:
	s_or_b32 exec_lo, exec_lo, s0
	s_delay_alu instid0(SALU_CYCLE_1)
	s_mov_b32 s0, exec_lo
	s_wait_dscnt 0x0
	s_barrier_signal -1
	s_barrier_wait -1
	v_cmpx_eq_u16_e32 0, v14
	s_cbranch_execz .LBB118_17
; %bb.16:
	ds_load_b128 v[14:17], v1
	ds_load_b128 v[18:21], v1 offset:16
	s_wait_dscnt 0x0
	v_add_f64_e32 v[14:15], v[18:19], v[14:15]
	v_add_f64_e32 v[16:17], v[20:21], v[16:17]
	ds_store_b128 v1, v[14:17]
.LBB118_17:
	s_or_b32 exec_lo, exec_lo, s0
	v_mov_b64_e32 v[16:17], v[12:13]
	v_mov_b64_e32 v[14:15], v[10:11]
	s_mov_b32 s0, exec_lo
	s_wait_dscnt 0x0
	s_barrier_signal -1
	s_barrier_wait -1
	v_cmpx_gt_u32_e32 14, v0
; %bb.18:
	v_mad_u32_u24 v14, 0x60, v0, v1
	ds_load_b128 v[14:17], v14
; %bb.19:
	s_or_b32 exec_lo, exec_lo, s0
	s_branch .LBB118_30
.LBB118_20:
                                        ; implicit-def: $vgpr16_vgpr17
	s_cbranch_execz .LBB118_30
; %bb.21:
	s_mov_b32 s0, exec_lo
	v_cmpx_gt_u32_e32 42, v0
	s_cbranch_execz .LBB118_23
; %bb.22:
	s_wait_dscnt 0x0
	ds_load_b128 v[14:17], v1 offset:896
	ds_load_b128 v[18:21], v1
	s_wait_dscnt 0x0
	v_add_f64_e32 v[14:15], v[14:15], v[18:19]
	v_add_f64_e32 v[16:17], v[16:17], v[20:21]
	ds_store_b128 v1, v[14:17]
.LBB118_23:
	s_or_b32 exec_lo, exec_lo, s0
	s_delay_alu instid0(SALU_CYCLE_1)
	s_mov_b32 s0, exec_lo
	s_wait_dscnt 0x0
	s_barrier_signal -1
	s_barrier_wait -1
	v_cmpx_gt_u32_e32 28, v0
	s_cbranch_execz .LBB118_25
; %bb.24:
	ds_load_b128 v[14:17], v1 offset:448
	ds_load_b128 v[18:21], v1
	s_wait_dscnt 0x0
	v_add_f64_e32 v[14:15], v[14:15], v[18:19]
	v_add_f64_e32 v[16:17], v[16:17], v[20:21]
	ds_store_b128 v1, v[14:17]
.LBB118_25:
	s_or_b32 exec_lo, exec_lo, s0
	s_delay_alu instid0(SALU_CYCLE_1)
	s_mov_b32 s0, exec_lo
	s_wait_dscnt 0x0
	v_cmpx_lt_u32_e32 13, v0
	s_xor_b32 s0, exec_lo, s0
; %bb.26:
                                        ; implicit-def: $vgpr1
; %bb.27:
	s_delay_alu instid0(SALU_CYCLE_1)
	s_and_not1_saveexec_b32 s0, s0
	s_cbranch_execz .LBB118_29
; %bb.28:
	ds_load_b128 v[10:13], v1 offset:224
	ds_load_b128 v[14:17], v1
	s_wait_dscnt 0x0
	v_add_f64_e32 v[10:11], v[10:11], v[14:15]
	v_add_f64_e32 v[12:13], v[12:13], v[16:17]
	ds_store_b128 v1, v[10:13]
	s_wait_dscnt 0x0
	ds_load_b128 v[10:13], v1
.LBB118_29:
	s_or_b32 exec_lo, exec_lo, s0
	s_wait_dscnt 0x0
	v_mov_b64_e32 v[16:17], v[12:13]
	v_mov_b64_e32 v[14:15], v[10:11]
.LBB118_30:
	v_cmp_gt_u32_e32 vcc_lo, 14, v0
	s_and_b32 exec_lo, exec_lo, vcc_lo
	s_cbranch_execz .LBB118_35
; %bb.31:
	s_wait_dscnt 0x0
	s_delay_alu instid0(VALU_DEP_3)
	v_mul_f64_e64 v[10:11], v[16:17], -v[8:9]
	v_mul_f64_e32 v[12:13], v[6:7], v[16:17]
	v_cmp_eq_f64_e32 vcc_lo, 0, v[2:3]
	v_cmp_eq_f64_e64 s0, 0, v[4:5]
	v_mad_u32 v0, s8, 14, v0
	v_fmac_f64_e32 v[10:11], v[6:7], v[14:15]
	v_fmac_f64_e32 v[12:13], v[8:9], v[14:15]
	s_and_b32 s0, vcc_lo, s0
	s_delay_alu instid0(SALU_CYCLE_1) | instskip(NEXT) | instid1(SALU_CYCLE_1)
	s_and_saveexec_b32 s1, s0
	s_xor_b32 s0, exec_lo, s1
	s_cbranch_execz .LBB118_33
; %bb.32:
	global_store_b128 v0, v[10:13], s[2:3] scale_offset
                                        ; implicit-def: $vgpr0
                                        ; implicit-def: $vgpr2_vgpr3
                                        ; implicit-def: $vgpr10_vgpr11
.LBB118_33:
	s_wait_xcnt 0x0
	s_and_not1_saveexec_b32 s0, s0
	s_cbranch_execz .LBB118_35
; %bb.34:
	global_load_b128 v[6:9], v0, s[2:3] scale_offset
	s_wait_loadcnt 0x0
	v_fmac_f64_e32 v[10:11], v[2:3], v[6:7]
	v_fmac_f64_e32 v[12:13], v[4:5], v[6:7]
	s_delay_alu instid0(VALU_DEP_2) | instskip(NEXT) | instid1(VALU_DEP_2)
	v_fma_f64 v[10:11], -v[4:5], v[8:9], v[10:11]
	v_fmac_f64_e32 v[12:13], v[2:3], v[8:9]
	global_store_b128 v0, v[10:13], s[2:3] scale_offset
.LBB118_35:
	s_endpgm
	.section	.rodata,"a",@progbits
	.p2align	6, 0x0
	.amdhsa_kernel _ZN9rocsparseL22gebsrmvn_mxn_16_kernelILj98ELj14ELj7E21rocsparse_complex_numIdEEEvi20rocsparse_direction_NS_24const_host_device_scalarIT2_EEPKiS8_PKS5_iiSA_S6_PS5_21rocsparse_index_base_b
		.amdhsa_group_segment_fixed_size 1568
		.amdhsa_private_segment_fixed_size 0
		.amdhsa_kernarg_size 96
		.amdhsa_user_sgpr_count 2
		.amdhsa_user_sgpr_dispatch_ptr 0
		.amdhsa_user_sgpr_queue_ptr 0
		.amdhsa_user_sgpr_kernarg_segment_ptr 1
		.amdhsa_user_sgpr_dispatch_id 0
		.amdhsa_user_sgpr_kernarg_preload_length 0
		.amdhsa_user_sgpr_kernarg_preload_offset 0
		.amdhsa_user_sgpr_private_segment_size 0
		.amdhsa_wavefront_size32 1
		.amdhsa_uses_dynamic_stack 0
		.amdhsa_enable_private_segment 0
		.amdhsa_system_sgpr_workgroup_id_x 1
		.amdhsa_system_sgpr_workgroup_id_y 0
		.amdhsa_system_sgpr_workgroup_id_z 0
		.amdhsa_system_sgpr_workgroup_info 0
		.amdhsa_system_vgpr_workitem_id 0
		.amdhsa_next_free_vgpr 26
		.amdhsa_next_free_sgpr 16
		.amdhsa_named_barrier_count 0
		.amdhsa_reserve_vcc 1
		.amdhsa_float_round_mode_32 0
		.amdhsa_float_round_mode_16_64 0
		.amdhsa_float_denorm_mode_32 3
		.amdhsa_float_denorm_mode_16_64 3
		.amdhsa_fp16_overflow 0
		.amdhsa_memory_ordered 1
		.amdhsa_forward_progress 1
		.amdhsa_inst_pref_size 11
		.amdhsa_round_robin_scheduling 0
		.amdhsa_exception_fp_ieee_invalid_op 0
		.amdhsa_exception_fp_denorm_src 0
		.amdhsa_exception_fp_ieee_div_zero 0
		.amdhsa_exception_fp_ieee_overflow 0
		.amdhsa_exception_fp_ieee_underflow 0
		.amdhsa_exception_fp_ieee_inexact 0
		.amdhsa_exception_int_div_zero 0
	.end_amdhsa_kernel
	.section	.text._ZN9rocsparseL22gebsrmvn_mxn_16_kernelILj98ELj14ELj7E21rocsparse_complex_numIdEEEvi20rocsparse_direction_NS_24const_host_device_scalarIT2_EEPKiS8_PKS5_iiSA_S6_PS5_21rocsparse_index_base_b,"axG",@progbits,_ZN9rocsparseL22gebsrmvn_mxn_16_kernelILj98ELj14ELj7E21rocsparse_complex_numIdEEEvi20rocsparse_direction_NS_24const_host_device_scalarIT2_EEPKiS8_PKS5_iiSA_S6_PS5_21rocsparse_index_base_b,comdat
.Lfunc_end118:
	.size	_ZN9rocsparseL22gebsrmvn_mxn_16_kernelILj98ELj14ELj7E21rocsparse_complex_numIdEEEvi20rocsparse_direction_NS_24const_host_device_scalarIT2_EEPKiS8_PKS5_iiSA_S6_PS5_21rocsparse_index_base_b, .Lfunc_end118-_ZN9rocsparseL22gebsrmvn_mxn_16_kernelILj98ELj14ELj7E21rocsparse_complex_numIdEEEvi20rocsparse_direction_NS_24const_host_device_scalarIT2_EEPKiS8_PKS5_iiSA_S6_PS5_21rocsparse_index_base_b
                                        ; -- End function
	.set _ZN9rocsparseL22gebsrmvn_mxn_16_kernelILj98ELj14ELj7E21rocsparse_complex_numIdEEEvi20rocsparse_direction_NS_24const_host_device_scalarIT2_EEPKiS8_PKS5_iiSA_S6_PS5_21rocsparse_index_base_b.num_vgpr, 26
	.set _ZN9rocsparseL22gebsrmvn_mxn_16_kernelILj98ELj14ELj7E21rocsparse_complex_numIdEEEvi20rocsparse_direction_NS_24const_host_device_scalarIT2_EEPKiS8_PKS5_iiSA_S6_PS5_21rocsparse_index_base_b.num_agpr, 0
	.set _ZN9rocsparseL22gebsrmvn_mxn_16_kernelILj98ELj14ELj7E21rocsparse_complex_numIdEEEvi20rocsparse_direction_NS_24const_host_device_scalarIT2_EEPKiS8_PKS5_iiSA_S6_PS5_21rocsparse_index_base_b.numbered_sgpr, 16
	.set _ZN9rocsparseL22gebsrmvn_mxn_16_kernelILj98ELj14ELj7E21rocsparse_complex_numIdEEEvi20rocsparse_direction_NS_24const_host_device_scalarIT2_EEPKiS8_PKS5_iiSA_S6_PS5_21rocsparse_index_base_b.num_named_barrier, 0
	.set _ZN9rocsparseL22gebsrmvn_mxn_16_kernelILj98ELj14ELj7E21rocsparse_complex_numIdEEEvi20rocsparse_direction_NS_24const_host_device_scalarIT2_EEPKiS8_PKS5_iiSA_S6_PS5_21rocsparse_index_base_b.private_seg_size, 0
	.set _ZN9rocsparseL22gebsrmvn_mxn_16_kernelILj98ELj14ELj7E21rocsparse_complex_numIdEEEvi20rocsparse_direction_NS_24const_host_device_scalarIT2_EEPKiS8_PKS5_iiSA_S6_PS5_21rocsparse_index_base_b.uses_vcc, 1
	.set _ZN9rocsparseL22gebsrmvn_mxn_16_kernelILj98ELj14ELj7E21rocsparse_complex_numIdEEEvi20rocsparse_direction_NS_24const_host_device_scalarIT2_EEPKiS8_PKS5_iiSA_S6_PS5_21rocsparse_index_base_b.uses_flat_scratch, 0
	.set _ZN9rocsparseL22gebsrmvn_mxn_16_kernelILj98ELj14ELj7E21rocsparse_complex_numIdEEEvi20rocsparse_direction_NS_24const_host_device_scalarIT2_EEPKiS8_PKS5_iiSA_S6_PS5_21rocsparse_index_base_b.has_dyn_sized_stack, 0
	.set _ZN9rocsparseL22gebsrmvn_mxn_16_kernelILj98ELj14ELj7E21rocsparse_complex_numIdEEEvi20rocsparse_direction_NS_24const_host_device_scalarIT2_EEPKiS8_PKS5_iiSA_S6_PS5_21rocsparse_index_base_b.has_recursion, 0
	.set _ZN9rocsparseL22gebsrmvn_mxn_16_kernelILj98ELj14ELj7E21rocsparse_complex_numIdEEEvi20rocsparse_direction_NS_24const_host_device_scalarIT2_EEPKiS8_PKS5_iiSA_S6_PS5_21rocsparse_index_base_b.has_indirect_call, 0
	.section	.AMDGPU.csdata,"",@progbits
; Kernel info:
; codeLenInByte = 1312
; TotalNumSgprs: 18
; NumVgprs: 26
; ScratchSize: 0
; MemoryBound: 0
; FloatMode: 240
; IeeeMode: 1
; LDSByteSize: 1568 bytes/workgroup (compile time only)
; SGPRBlocks: 0
; VGPRBlocks: 1
; NumSGPRsForWavesPerEU: 18
; NumVGPRsForWavesPerEU: 26
; NamedBarCnt: 0
; Occupancy: 16
; WaveLimiterHint : 1
; COMPUTE_PGM_RSRC2:SCRATCH_EN: 0
; COMPUTE_PGM_RSRC2:USER_SGPR: 2
; COMPUTE_PGM_RSRC2:TRAP_HANDLER: 0
; COMPUTE_PGM_RSRC2:TGID_X_EN: 1
; COMPUTE_PGM_RSRC2:TGID_Y_EN: 0
; COMPUTE_PGM_RSRC2:TGID_Z_EN: 0
; COMPUTE_PGM_RSRC2:TIDIG_COMP_CNT: 0
	.section	.text._ZN9rocsparseL22gebsrmvn_mxn_16_kernelILj112ELj14ELj8E21rocsparse_complex_numIdEEEvi20rocsparse_direction_NS_24const_host_device_scalarIT2_EEPKiS8_PKS5_iiSA_S6_PS5_21rocsparse_index_base_b,"axG",@progbits,_ZN9rocsparseL22gebsrmvn_mxn_16_kernelILj112ELj14ELj8E21rocsparse_complex_numIdEEEvi20rocsparse_direction_NS_24const_host_device_scalarIT2_EEPKiS8_PKS5_iiSA_S6_PS5_21rocsparse_index_base_b,comdat
	.globl	_ZN9rocsparseL22gebsrmvn_mxn_16_kernelILj112ELj14ELj8E21rocsparse_complex_numIdEEEvi20rocsparse_direction_NS_24const_host_device_scalarIT2_EEPKiS8_PKS5_iiSA_S6_PS5_21rocsparse_index_base_b ; -- Begin function _ZN9rocsparseL22gebsrmvn_mxn_16_kernelILj112ELj14ELj8E21rocsparse_complex_numIdEEEvi20rocsparse_direction_NS_24const_host_device_scalarIT2_EEPKiS8_PKS5_iiSA_S6_PS5_21rocsparse_index_base_b
	.p2align	8
	.type	_ZN9rocsparseL22gebsrmvn_mxn_16_kernelILj112ELj14ELj8E21rocsparse_complex_numIdEEEvi20rocsparse_direction_NS_24const_host_device_scalarIT2_EEPKiS8_PKS5_iiSA_S6_PS5_21rocsparse_index_base_b,@function
_ZN9rocsparseL22gebsrmvn_mxn_16_kernelILj112ELj14ELj8E21rocsparse_complex_numIdEEEvi20rocsparse_direction_NS_24const_host_device_scalarIT2_EEPKiS8_PKS5_iiSA_S6_PS5_21rocsparse_index_base_b: ; @_ZN9rocsparseL22gebsrmvn_mxn_16_kernelILj112ELj14ELj8E21rocsparse_complex_numIdEEEvi20rocsparse_direction_NS_24const_host_device_scalarIT2_EEPKiS8_PKS5_iiSA_S6_PS5_21rocsparse_index_base_b
; %bb.0:
	s_clause 0x1
	s_load_b64 s[10:11], s[0:1], 0x58
	s_load_b64 s[2:3], s[0:1], 0x8
	v_mov_b32_e32 v1, 0
	s_add_nc_u64 s[4:5], s[0:1], 8
	s_load_b64 s[6:7], s[0:1], 0x40
	s_wait_kmcnt 0x0
	s_bitcmp1_b32 s11, 0
	s_cselect_b32 s3, s5, s3
	s_cselect_b32 s2, s4, s2
	flat_load_b128 v[6:9], v1, s[2:3]
	s_wait_xcnt 0x0
	s_add_nc_u64 s[2:3], s[0:1], 64
	s_delay_alu instid0(SALU_CYCLE_1)
	s_cselect_b32 s3, s3, s7
	s_cselect_b32 s2, s2, s6
	flat_load_b128 v[2:5], v1, s[2:3]
	s_wait_loadcnt_dscnt 0x101
	v_cmp_eq_f64_e32 vcc_lo, 0, v[6:7]
	s_wait_xcnt 0x0
	v_cmp_eq_f64_e64 s2, 0, v[8:9]
	s_and_b32 s4, vcc_lo, s2
	s_mov_b32 s2, -1
	s_and_saveexec_b32 s3, s4
	s_cbranch_execz .LBB119_2
; %bb.1:
	s_wait_loadcnt_dscnt 0x0
	v_cmp_neq_f64_e32 vcc_lo, 1.0, v[2:3]
	v_cmp_neq_f64_e64 s2, 0, v[4:5]
	s_or_b32 s2, vcc_lo, s2
	s_delay_alu instid0(SALU_CYCLE_1)
	s_or_not1_b32 s2, s2, exec_lo
.LBB119_2:
	s_or_b32 exec_lo, exec_lo, s3
	s_and_saveexec_b32 s3, s2
	s_cbranch_execz .LBB119_35
; %bb.3:
	s_clause 0x1
	s_load_b32 s4, s[0:1], 0x4
	s_load_b64 s[2:3], s[0:1], 0x18
	v_and_b32_e32 v14, 7, v0
	s_delay_alu instid0(VALU_DEP_1) | instskip(SKIP_3) | instid1(SALU_CYCLE_1)
	v_mov_b32_e32 v1, v14
	s_wait_kmcnt 0x0
	s_cmp_lg_u32 s4, 1
	s_cselect_b32 s11, -1, 0
	s_and_b32 vcc_lo, exec_lo, s11
	s_cbranch_vccnz .LBB119_5
; %bb.4:
	v_mul_u32_u24_e32 v1, 0x124a, v0
	s_delay_alu instid0(VALU_DEP_1)
	v_bfe_u32 v1, v1, 16, 3
.LBB119_5:
	s_bfe_u32 s4, ttmp6, 0x4000c
	s_and_b32 s5, ttmp6, 15
	s_add_co_i32 s4, s4, 1
	s_getreg_b32 s6, hwreg(HW_REG_IB_STS2, 6, 4)
	s_mul_i32 s4, ttmp9, s4
	v_mov_b64_e32 v[12:13], 0
	s_add_co_i32 s5, s5, s4
	s_cmp_eq_u32 s6, 0
	v_mov_b64_e32 v[10:11], 0
	s_cselect_b32 s8, ttmp9, s5
	s_delay_alu instid0(SALU_CYCLE_1) | instskip(NEXT) | instid1(SALU_CYCLE_1)
	s_ashr_i32 s9, s8, 31
	s_lshl_b64 s[4:5], s[8:9], 2
	s_delay_alu instid0(SALU_CYCLE_1)
	s_add_nc_u64 s[4:5], s[2:3], s[4:5]
	s_load_b64 s[14:15], s[4:5], 0x0
	s_load_b64 s[2:3], s[0:1], 0x50
	s_wait_kmcnt 0x0
	s_cmp_ge_i32 s14, s15
	s_cbranch_scc1 .LBB119_10
; %bb.6:
	s_clause 0x1
	s_load_b128 s[4:7], s[0:1], 0x20
	s_load_b64 s[12:13], s[0:1], 0x38
	v_mad_u32 v10, 0x70, s14, v0
	v_mov_b64_e32 v[12:13], 0
	v_mul_u32_u24_e32 v11, 0x24a, v0
	s_wait_xcnt 0x0
	s_mul_i32 s0, s10, 0x70
	s_sub_co_i32 s1, s14, s10
	s_delay_alu instid0(VALU_DEP_1) | instskip(NEXT) | instid1(VALU_DEP_4)
	v_lshrrev_b32_e32 v15, 16, v11
	v_subrev_nc_u32_e32 v16, s0, v10
	v_mov_b64_e32 v[10:11], v[12:13]
	s_sub_co_i32 s0, s15, s10
	s_branch .LBB119_8
.LBB119_7:                              ;   in Loop: Header=BB119_8 Depth=1
	s_or_b32 exec_lo, exec_lo, s9
	v_add_nc_u32_e32 v16, 0x70, v16
	s_add_co_i32 s1, s1, 1
	s_delay_alu instid0(SALU_CYCLE_1)
	s_cmp_ge_i32 s1, s0
	s_cbranch_scc1 .LBB119_10
.LBB119_8:                              ; =>This Inner Loop Header: Depth=1
	v_add_nc_u32_e32 v17, s1, v15
	s_mov_b32 s9, exec_lo
	s_delay_alu instid0(VALU_DEP_1)
	v_cmpx_gt_i32_e64 s0, v17
	s_cbranch_execz .LBB119_7
; %bb.9:                                ;   in Loop: Header=BB119_8 Depth=1
	s_wait_kmcnt 0x0
	global_load_b32 v17, v17, s[4:5] scale_offset
	s_wait_loadcnt 0x0
	v_subrev_nc_u32_e32 v17, s10, v17
	s_delay_alu instid0(VALU_DEP_1)
	v_lshl_or_b32 v17, v17, 3, v1
	global_load_b128 v[18:21], v16, s[6:7] scale_offset
	global_load_b128 v[22:25], v17, s[12:13] scale_offset
	s_wait_loadcnt 0x0
	v_fmac_f64_e32 v[10:11], v[18:19], v[22:23]
	v_fmac_f64_e32 v[12:13], v[20:21], v[22:23]
	s_delay_alu instid0(VALU_DEP_2) | instskip(NEXT) | instid1(VALU_DEP_2)
	v_fma_f64 v[10:11], -v[20:21], v[24:25], v[10:11]
	v_fmac_f64_e32 v[12:13], v[18:19], v[24:25]
	s_branch .LBB119_7
.LBB119_10:
	v_lshlrev_b32_e32 v1, 4, v0
	s_and_b32 vcc_lo, exec_lo, s11
	ds_store_b128 v1, v[10:13]
	s_wait_loadcnt_dscnt 0x0
	s_barrier_signal -1
	s_barrier_wait -1
	s_cbranch_vccz .LBB119_20
; %bb.11:
	s_mov_b32 s0, exec_lo
	v_cmpx_gt_u32_e32 4, v14
	s_cbranch_execz .LBB119_13
; %bb.12:
	ds_load_b128 v[16:19], v1 offset:64
	ds_load_b128 v[20:23], v1
	s_wait_dscnt 0x0
	v_add_f64_e32 v[16:17], v[16:17], v[20:21]
	v_add_f64_e32 v[18:19], v[18:19], v[22:23]
	ds_store_b128 v1, v[16:19]
.LBB119_13:
	s_or_b32 exec_lo, exec_lo, s0
	s_delay_alu instid0(SALU_CYCLE_1)
	s_mov_b32 s0, exec_lo
	s_wait_dscnt 0x0
	s_barrier_signal -1
	s_barrier_wait -1
	v_cmpx_gt_u32_e32 2, v14
	s_cbranch_execz .LBB119_15
; %bb.14:
	ds_load_b128 v[16:19], v1
	ds_load_b128 v[20:23], v1 offset:32
	s_wait_dscnt 0x0
	v_add_f64_e32 v[16:17], v[20:21], v[16:17]
	v_add_f64_e32 v[18:19], v[22:23], v[18:19]
	ds_store_b128 v1, v[16:19]
.LBB119_15:
	s_or_b32 exec_lo, exec_lo, s0
	s_delay_alu instid0(SALU_CYCLE_1)
	s_mov_b32 s0, exec_lo
	s_wait_dscnt 0x0
	s_barrier_signal -1
	s_barrier_wait -1
	v_cmpx_eq_u32_e32 0, v14
	s_cbranch_execz .LBB119_17
; %bb.16:
	ds_load_b128 v[14:17], v1
	ds_load_b128 v[18:21], v1 offset:16
	s_wait_dscnt 0x0
	v_add_f64_e32 v[14:15], v[18:19], v[14:15]
	v_add_f64_e32 v[16:17], v[20:21], v[16:17]
	ds_store_b128 v1, v[14:17]
.LBB119_17:
	s_or_b32 exec_lo, exec_lo, s0
	v_mov_b64_e32 v[16:17], v[12:13]
	v_mov_b64_e32 v[14:15], v[10:11]
	s_mov_b32 s0, exec_lo
	s_wait_dscnt 0x0
	s_barrier_signal -1
	s_barrier_wait -1
	v_cmpx_gt_u32_e32 14, v0
; %bb.18:
	v_mad_u32_u24 v14, 0x70, v0, v1
	ds_load_b128 v[14:17], v14
; %bb.19:
	s_or_b32 exec_lo, exec_lo, s0
	s_branch .LBB119_30
.LBB119_20:
                                        ; implicit-def: $vgpr16_vgpr17
	s_cbranch_execz .LBB119_30
; %bb.21:
	s_mov_b32 s0, exec_lo
	v_cmpx_gt_u32_e32 56, v0
	s_cbranch_execz .LBB119_23
; %bb.22:
	s_wait_dscnt 0x0
	ds_load_b128 v[14:17], v1 offset:896
	ds_load_b128 v[18:21], v1
	s_wait_dscnt 0x0
	v_add_f64_e32 v[14:15], v[14:15], v[18:19]
	v_add_f64_e32 v[16:17], v[16:17], v[20:21]
	ds_store_b128 v1, v[14:17]
.LBB119_23:
	s_or_b32 exec_lo, exec_lo, s0
	s_delay_alu instid0(SALU_CYCLE_1)
	s_mov_b32 s0, exec_lo
	s_wait_dscnt 0x0
	s_barrier_signal -1
	s_barrier_wait -1
	v_cmpx_gt_u32_e32 28, v0
	s_cbranch_execz .LBB119_25
; %bb.24:
	ds_load_b128 v[14:17], v1 offset:448
	ds_load_b128 v[18:21], v1
	s_wait_dscnt 0x0
	v_add_f64_e32 v[14:15], v[14:15], v[18:19]
	v_add_f64_e32 v[16:17], v[16:17], v[20:21]
	ds_store_b128 v1, v[14:17]
.LBB119_25:
	s_or_b32 exec_lo, exec_lo, s0
	s_delay_alu instid0(SALU_CYCLE_1)
	s_mov_b32 s0, exec_lo
	s_wait_dscnt 0x0
	v_cmpx_lt_u32_e32 13, v0
	s_xor_b32 s0, exec_lo, s0
; %bb.26:
                                        ; implicit-def: $vgpr1
; %bb.27:
	s_delay_alu instid0(SALU_CYCLE_1)
	s_and_not1_saveexec_b32 s0, s0
	s_cbranch_execz .LBB119_29
; %bb.28:
	ds_load_b128 v[10:13], v1 offset:224
	ds_load_b128 v[14:17], v1
	s_wait_dscnt 0x0
	v_add_f64_e32 v[10:11], v[10:11], v[14:15]
	v_add_f64_e32 v[12:13], v[12:13], v[16:17]
	ds_store_b128 v1, v[10:13]
	s_wait_dscnt 0x0
	ds_load_b128 v[10:13], v1
.LBB119_29:
	s_or_b32 exec_lo, exec_lo, s0
	s_wait_dscnt 0x0
	v_mov_b64_e32 v[16:17], v[12:13]
	v_mov_b64_e32 v[14:15], v[10:11]
.LBB119_30:
	v_cmp_gt_u32_e32 vcc_lo, 14, v0
	s_and_b32 exec_lo, exec_lo, vcc_lo
	s_cbranch_execz .LBB119_35
; %bb.31:
	s_wait_dscnt 0x0
	s_delay_alu instid0(VALU_DEP_3)
	v_mul_f64_e64 v[10:11], v[16:17], -v[8:9]
	v_mul_f64_e32 v[12:13], v[6:7], v[16:17]
	v_cmp_eq_f64_e32 vcc_lo, 0, v[2:3]
	v_cmp_eq_f64_e64 s0, 0, v[4:5]
	v_mad_u32 v0, s8, 14, v0
	v_fmac_f64_e32 v[10:11], v[6:7], v[14:15]
	v_fmac_f64_e32 v[12:13], v[8:9], v[14:15]
	s_and_b32 s0, vcc_lo, s0
	s_delay_alu instid0(SALU_CYCLE_1) | instskip(NEXT) | instid1(SALU_CYCLE_1)
	s_and_saveexec_b32 s1, s0
	s_xor_b32 s0, exec_lo, s1
	s_cbranch_execz .LBB119_33
; %bb.32:
	global_store_b128 v0, v[10:13], s[2:3] scale_offset
                                        ; implicit-def: $vgpr0
                                        ; implicit-def: $vgpr2_vgpr3
                                        ; implicit-def: $vgpr10_vgpr11
.LBB119_33:
	s_wait_xcnt 0x0
	s_and_not1_saveexec_b32 s0, s0
	s_cbranch_execz .LBB119_35
; %bb.34:
	global_load_b128 v[6:9], v0, s[2:3] scale_offset
	s_wait_loadcnt 0x0
	v_fmac_f64_e32 v[10:11], v[2:3], v[6:7]
	v_fmac_f64_e32 v[12:13], v[4:5], v[6:7]
	s_delay_alu instid0(VALU_DEP_2) | instskip(NEXT) | instid1(VALU_DEP_2)
	v_fma_f64 v[10:11], -v[4:5], v[8:9], v[10:11]
	v_fmac_f64_e32 v[12:13], v[2:3], v[8:9]
	global_store_b128 v0, v[10:13], s[2:3] scale_offset
.LBB119_35:
	s_endpgm
	.section	.rodata,"a",@progbits
	.p2align	6, 0x0
	.amdhsa_kernel _ZN9rocsparseL22gebsrmvn_mxn_16_kernelILj112ELj14ELj8E21rocsparse_complex_numIdEEEvi20rocsparse_direction_NS_24const_host_device_scalarIT2_EEPKiS8_PKS5_iiSA_S6_PS5_21rocsparse_index_base_b
		.amdhsa_group_segment_fixed_size 1792
		.amdhsa_private_segment_fixed_size 0
		.amdhsa_kernarg_size 96
		.amdhsa_user_sgpr_count 2
		.amdhsa_user_sgpr_dispatch_ptr 0
		.amdhsa_user_sgpr_queue_ptr 0
		.amdhsa_user_sgpr_kernarg_segment_ptr 1
		.amdhsa_user_sgpr_dispatch_id 0
		.amdhsa_user_sgpr_kernarg_preload_length 0
		.amdhsa_user_sgpr_kernarg_preload_offset 0
		.amdhsa_user_sgpr_private_segment_size 0
		.amdhsa_wavefront_size32 1
		.amdhsa_uses_dynamic_stack 0
		.amdhsa_enable_private_segment 0
		.amdhsa_system_sgpr_workgroup_id_x 1
		.amdhsa_system_sgpr_workgroup_id_y 0
		.amdhsa_system_sgpr_workgroup_id_z 0
		.amdhsa_system_sgpr_workgroup_info 0
		.amdhsa_system_vgpr_workitem_id 0
		.amdhsa_next_free_vgpr 26
		.amdhsa_next_free_sgpr 16
		.amdhsa_named_barrier_count 0
		.amdhsa_reserve_vcc 1
		.amdhsa_float_round_mode_32 0
		.amdhsa_float_round_mode_16_64 0
		.amdhsa_float_denorm_mode_32 3
		.amdhsa_float_denorm_mode_16_64 3
		.amdhsa_fp16_overflow 0
		.amdhsa_memory_ordered 1
		.amdhsa_forward_progress 1
		.amdhsa_inst_pref_size 10
		.amdhsa_round_robin_scheduling 0
		.amdhsa_exception_fp_ieee_invalid_op 0
		.amdhsa_exception_fp_denorm_src 0
		.amdhsa_exception_fp_ieee_div_zero 0
		.amdhsa_exception_fp_ieee_overflow 0
		.amdhsa_exception_fp_ieee_underflow 0
		.amdhsa_exception_fp_ieee_inexact 0
		.amdhsa_exception_int_div_zero 0
	.end_amdhsa_kernel
	.section	.text._ZN9rocsparseL22gebsrmvn_mxn_16_kernelILj112ELj14ELj8E21rocsparse_complex_numIdEEEvi20rocsparse_direction_NS_24const_host_device_scalarIT2_EEPKiS8_PKS5_iiSA_S6_PS5_21rocsparse_index_base_b,"axG",@progbits,_ZN9rocsparseL22gebsrmvn_mxn_16_kernelILj112ELj14ELj8E21rocsparse_complex_numIdEEEvi20rocsparse_direction_NS_24const_host_device_scalarIT2_EEPKiS8_PKS5_iiSA_S6_PS5_21rocsparse_index_base_b,comdat
.Lfunc_end119:
	.size	_ZN9rocsparseL22gebsrmvn_mxn_16_kernelILj112ELj14ELj8E21rocsparse_complex_numIdEEEvi20rocsparse_direction_NS_24const_host_device_scalarIT2_EEPKiS8_PKS5_iiSA_S6_PS5_21rocsparse_index_base_b, .Lfunc_end119-_ZN9rocsparseL22gebsrmvn_mxn_16_kernelILj112ELj14ELj8E21rocsparse_complex_numIdEEEvi20rocsparse_direction_NS_24const_host_device_scalarIT2_EEPKiS8_PKS5_iiSA_S6_PS5_21rocsparse_index_base_b
                                        ; -- End function
	.set _ZN9rocsparseL22gebsrmvn_mxn_16_kernelILj112ELj14ELj8E21rocsparse_complex_numIdEEEvi20rocsparse_direction_NS_24const_host_device_scalarIT2_EEPKiS8_PKS5_iiSA_S6_PS5_21rocsparse_index_base_b.num_vgpr, 26
	.set _ZN9rocsparseL22gebsrmvn_mxn_16_kernelILj112ELj14ELj8E21rocsparse_complex_numIdEEEvi20rocsparse_direction_NS_24const_host_device_scalarIT2_EEPKiS8_PKS5_iiSA_S6_PS5_21rocsparse_index_base_b.num_agpr, 0
	.set _ZN9rocsparseL22gebsrmvn_mxn_16_kernelILj112ELj14ELj8E21rocsparse_complex_numIdEEEvi20rocsparse_direction_NS_24const_host_device_scalarIT2_EEPKiS8_PKS5_iiSA_S6_PS5_21rocsparse_index_base_b.numbered_sgpr, 16
	.set _ZN9rocsparseL22gebsrmvn_mxn_16_kernelILj112ELj14ELj8E21rocsparse_complex_numIdEEEvi20rocsparse_direction_NS_24const_host_device_scalarIT2_EEPKiS8_PKS5_iiSA_S6_PS5_21rocsparse_index_base_b.num_named_barrier, 0
	.set _ZN9rocsparseL22gebsrmvn_mxn_16_kernelILj112ELj14ELj8E21rocsparse_complex_numIdEEEvi20rocsparse_direction_NS_24const_host_device_scalarIT2_EEPKiS8_PKS5_iiSA_S6_PS5_21rocsparse_index_base_b.private_seg_size, 0
	.set _ZN9rocsparseL22gebsrmvn_mxn_16_kernelILj112ELj14ELj8E21rocsparse_complex_numIdEEEvi20rocsparse_direction_NS_24const_host_device_scalarIT2_EEPKiS8_PKS5_iiSA_S6_PS5_21rocsparse_index_base_b.uses_vcc, 1
	.set _ZN9rocsparseL22gebsrmvn_mxn_16_kernelILj112ELj14ELj8E21rocsparse_complex_numIdEEEvi20rocsparse_direction_NS_24const_host_device_scalarIT2_EEPKiS8_PKS5_iiSA_S6_PS5_21rocsparse_index_base_b.uses_flat_scratch, 0
	.set _ZN9rocsparseL22gebsrmvn_mxn_16_kernelILj112ELj14ELj8E21rocsparse_complex_numIdEEEvi20rocsparse_direction_NS_24const_host_device_scalarIT2_EEPKiS8_PKS5_iiSA_S6_PS5_21rocsparse_index_base_b.has_dyn_sized_stack, 0
	.set _ZN9rocsparseL22gebsrmvn_mxn_16_kernelILj112ELj14ELj8E21rocsparse_complex_numIdEEEvi20rocsparse_direction_NS_24const_host_device_scalarIT2_EEPKiS8_PKS5_iiSA_S6_PS5_21rocsparse_index_base_b.has_recursion, 0
	.set _ZN9rocsparseL22gebsrmvn_mxn_16_kernelILj112ELj14ELj8E21rocsparse_complex_numIdEEEvi20rocsparse_direction_NS_24const_host_device_scalarIT2_EEPKiS8_PKS5_iiSA_S6_PS5_21rocsparse_index_base_b.has_indirect_call, 0
	.section	.AMDGPU.csdata,"",@progbits
; Kernel info:
; codeLenInByte = 1224
; TotalNumSgprs: 18
; NumVgprs: 26
; ScratchSize: 0
; MemoryBound: 0
; FloatMode: 240
; IeeeMode: 1
; LDSByteSize: 1792 bytes/workgroup (compile time only)
; SGPRBlocks: 0
; VGPRBlocks: 1
; NumSGPRsForWavesPerEU: 18
; NumVGPRsForWavesPerEU: 26
; NamedBarCnt: 0
; Occupancy: 16
; WaveLimiterHint : 1
; COMPUTE_PGM_RSRC2:SCRATCH_EN: 0
; COMPUTE_PGM_RSRC2:USER_SGPR: 2
; COMPUTE_PGM_RSRC2:TRAP_HANDLER: 0
; COMPUTE_PGM_RSRC2:TGID_X_EN: 1
; COMPUTE_PGM_RSRC2:TGID_Y_EN: 0
; COMPUTE_PGM_RSRC2:TGID_Z_EN: 0
; COMPUTE_PGM_RSRC2:TIDIG_COMP_CNT: 0
	.section	.text._ZN9rocsparseL22gebsrmvn_mxn_16_kernelILj60ELj15ELj1E21rocsparse_complex_numIdEEEvi20rocsparse_direction_NS_24const_host_device_scalarIT2_EEPKiS8_PKS5_iiSA_S6_PS5_21rocsparse_index_base_b,"axG",@progbits,_ZN9rocsparseL22gebsrmvn_mxn_16_kernelILj60ELj15ELj1E21rocsparse_complex_numIdEEEvi20rocsparse_direction_NS_24const_host_device_scalarIT2_EEPKiS8_PKS5_iiSA_S6_PS5_21rocsparse_index_base_b,comdat
	.globl	_ZN9rocsparseL22gebsrmvn_mxn_16_kernelILj60ELj15ELj1E21rocsparse_complex_numIdEEEvi20rocsparse_direction_NS_24const_host_device_scalarIT2_EEPKiS8_PKS5_iiSA_S6_PS5_21rocsparse_index_base_b ; -- Begin function _ZN9rocsparseL22gebsrmvn_mxn_16_kernelILj60ELj15ELj1E21rocsparse_complex_numIdEEEvi20rocsparse_direction_NS_24const_host_device_scalarIT2_EEPKiS8_PKS5_iiSA_S6_PS5_21rocsparse_index_base_b
	.p2align	8
	.type	_ZN9rocsparseL22gebsrmvn_mxn_16_kernelILj60ELj15ELj1E21rocsparse_complex_numIdEEEvi20rocsparse_direction_NS_24const_host_device_scalarIT2_EEPKiS8_PKS5_iiSA_S6_PS5_21rocsparse_index_base_b,@function
_ZN9rocsparseL22gebsrmvn_mxn_16_kernelILj60ELj15ELj1E21rocsparse_complex_numIdEEEvi20rocsparse_direction_NS_24const_host_device_scalarIT2_EEPKiS8_PKS5_iiSA_S6_PS5_21rocsparse_index_base_b: ; @_ZN9rocsparseL22gebsrmvn_mxn_16_kernelILj60ELj15ELj1E21rocsparse_complex_numIdEEEvi20rocsparse_direction_NS_24const_host_device_scalarIT2_EEPKiS8_PKS5_iiSA_S6_PS5_21rocsparse_index_base_b
; %bb.0:
	s_clause 0x1
	s_load_b64 s[10:11], s[0:1], 0x58
	s_load_b64 s[2:3], s[0:1], 0x8
	v_mov_b32_e32 v1, 0
	s_add_nc_u64 s[4:5], s[0:1], 8
	s_load_b64 s[6:7], s[0:1], 0x40
	s_wait_kmcnt 0x0
	s_bitcmp1_b32 s11, 0
	s_cselect_b32 s3, s5, s3
	s_cselect_b32 s2, s4, s2
	flat_load_b128 v[6:9], v1, s[2:3]
	s_wait_xcnt 0x0
	s_add_nc_u64 s[2:3], s[0:1], 64
	s_delay_alu instid0(SALU_CYCLE_1)
	s_cselect_b32 s3, s3, s7
	s_cselect_b32 s2, s2, s6
	flat_load_b128 v[2:5], v1, s[2:3]
	s_wait_loadcnt_dscnt 0x101
	v_cmp_eq_f64_e32 vcc_lo, 0, v[6:7]
	s_wait_xcnt 0x0
	v_cmp_eq_f64_e64 s2, 0, v[8:9]
	s_and_b32 s4, vcc_lo, s2
	s_mov_b32 s2, -1
	s_and_saveexec_b32 s3, s4
	s_cbranch_execz .LBB120_2
; %bb.1:
	s_wait_loadcnt_dscnt 0x0
	v_cmp_neq_f64_e32 vcc_lo, 1.0, v[2:3]
	v_cmp_neq_f64_e64 s2, 0, v[4:5]
	s_or_b32 s2, vcc_lo, s2
	s_delay_alu instid0(SALU_CYCLE_1)
	s_or_not1_b32 s2, s2, exec_lo
.LBB120_2:
	s_or_b32 exec_lo, exec_lo, s3
	s_and_saveexec_b32 s3, s2
	s_cbranch_execz .LBB120_19
; %bb.3:
	s_load_b64 s[2:3], s[0:1], 0x18
	s_bfe_u32 s4, ttmp6, 0x4000c
	s_and_b32 s5, ttmp6, 15
	s_add_co_i32 s4, s4, 1
	s_getreg_b32 s6, hwreg(HW_REG_IB_STS2, 6, 4)
	s_mul_i32 s4, ttmp9, s4
	s_delay_alu instid0(SALU_CYCLE_1) | instskip(SKIP_2) | instid1(SALU_CYCLE_1)
	s_add_co_i32 s5, s5, s4
	s_cmp_eq_u32 s6, 0
	s_cselect_b32 s8, ttmp9, s5
	s_ashr_i32 s9, s8, 31
	s_delay_alu instid0(SALU_CYCLE_1)
	s_lshl_b64 s[4:5], s[8:9], 2
	s_wait_kmcnt 0x0
	s_add_nc_u64 s[2:3], s[2:3], s[4:5]
	s_mov_b32 s4, 0
	s_load_b64 s[14:15], s[2:3], 0x0
	s_wait_kmcnt 0x0
	s_cmp_lt_i32 s14, s15
	s_cbranch_scc0 .LBB120_5
; %bb.4:
	s_mov_b32 s4, -1
.LBB120_5:
	s_load_b64 s[2:3], s[0:1], 0x50
	v_mov_b64_e32 v[12:13], 0
	v_mov_b64_e32 v[10:11], 0
	s_and_not1_b32 vcc_lo, exec_lo, s4
	s_cbranch_vccnz .LBB120_10
; %bb.6:
	s_clause 0x1
	s_load_b128 s[4:7], s[0:1], 0x20
	s_load_b64 s[12:13], s[0:1], 0x38
	v_mad_u32 v10, s14, 15, v0
	v_mov_b64_e32 v[12:13], 0
	v_mul_u32_u24_e32 v1, 0x1112, v0
	s_wait_xcnt 0x0
	s_mul_i32 s0, s10, 15
	s_sub_co_i32 s1, s14, s10
	s_delay_alu instid0(VALU_DEP_1) | instskip(NEXT) | instid1(VALU_DEP_4)
	v_lshrrev_b32_e32 v1, 16, v1
	v_subrev_nc_u32_e32 v14, s0, v10
	v_mov_b64_e32 v[10:11], v[12:13]
	s_sub_co_i32 s0, s15, s10
	s_branch .LBB120_8
.LBB120_7:                              ;   in Loop: Header=BB120_8 Depth=1
	s_or_b32 exec_lo, exec_lo, s9
	v_add_nc_u32_e32 v14, 60, v14
	s_add_co_i32 s1, s1, 4
	s_delay_alu instid0(SALU_CYCLE_1)
	s_cmp_ge_i32 s1, s0
	s_cbranch_scc1 .LBB120_10
.LBB120_8:                              ; =>This Inner Loop Header: Depth=1
	v_add_nc_u32_e32 v15, s1, v1
	s_mov_b32 s9, exec_lo
	s_delay_alu instid0(VALU_DEP_1)
	v_cmpx_gt_i32_e64 s0, v15
	s_cbranch_execz .LBB120_7
; %bb.9:                                ;   in Loop: Header=BB120_8 Depth=1
	s_wait_kmcnt 0x0
	global_load_b32 v15, v15, s[4:5] scale_offset
	s_wait_loadcnt 0x0
	v_subrev_nc_u32_e32 v15, s10, v15
	global_load_b128 v[16:19], v14, s[6:7] scale_offset
	global_load_b128 v[20:23], v15, s[12:13] scale_offset
	s_wait_loadcnt 0x0
	v_fmac_f64_e32 v[10:11], v[16:17], v[20:21]
	v_fmac_f64_e32 v[12:13], v[18:19], v[20:21]
	s_delay_alu instid0(VALU_DEP_2) | instskip(NEXT) | instid1(VALU_DEP_2)
	v_fma_f64 v[10:11], -v[18:19], v[22:23], v[10:11]
	v_fmac_f64_e32 v[12:13], v[16:17], v[22:23]
	s_branch .LBB120_7
.LBB120_10:
	v_lshlrev_b32_e32 v1, 4, v0
	s_wait_xcnt 0x0
	s_mov_b32 s0, exec_lo
	ds_store_b128 v1, v[10:13]
	s_wait_loadcnt_dscnt 0x0
	s_barrier_signal -1
	s_barrier_wait -1
	v_cmpx_gt_u32_e32 30, v0
	s_cbranch_execz .LBB120_12
; %bb.11:
	ds_load_b128 v[10:13], v1 offset:480
	ds_load_b128 v[14:17], v1
	s_wait_dscnt 0x0
	v_add_f64_e32 v[10:11], v[10:11], v[14:15]
	v_add_f64_e32 v[12:13], v[12:13], v[16:17]
	ds_store_b128 v1, v[10:13]
.LBB120_12:
	s_or_b32 exec_lo, exec_lo, s0
	v_cmp_gt_u32_e32 vcc_lo, 15, v0
	s_wait_dscnt 0x0
	s_barrier_signal -1
	s_barrier_wait -1
	s_and_saveexec_b32 s0, vcc_lo
	s_cbranch_execz .LBB120_14
; %bb.13:
	ds_load_b128 v[10:13], v1 offset:240
	ds_load_b128 v[14:17], v1
	s_wait_dscnt 0x0
	v_add_f64_e32 v[10:11], v[10:11], v[14:15]
	v_add_f64_e32 v[12:13], v[12:13], v[16:17]
	ds_store_b128 v1, v[10:13]
.LBB120_14:
	s_or_b32 exec_lo, exec_lo, s0
	s_wait_dscnt 0x0
	s_barrier_signal -1
	s_barrier_wait -1
	s_and_b32 exec_lo, exec_lo, vcc_lo
	s_cbranch_execz .LBB120_19
; %bb.15:
	ds_load_b128 v[14:17], v1
	v_cmp_eq_f64_e32 vcc_lo, 0, v[2:3]
	v_cmp_eq_f64_e64 s0, 0, v[4:5]
	v_mad_u32 v0, s8, 15, v0
	s_wait_dscnt 0x0
	v_mul_f64_e64 v[10:11], v[16:17], -v[8:9]
	v_mul_f64_e32 v[12:13], v[6:7], v[16:17]
	s_and_b32 s0, vcc_lo, s0
	s_delay_alu instid0(VALU_DEP_2) | instskip(NEXT) | instid1(VALU_DEP_2)
	v_fmac_f64_e32 v[10:11], v[6:7], v[14:15]
	v_fmac_f64_e32 v[12:13], v[8:9], v[14:15]
	s_and_saveexec_b32 s1, s0
	s_delay_alu instid0(SALU_CYCLE_1)
	s_xor_b32 s0, exec_lo, s1
	s_cbranch_execz .LBB120_17
; %bb.16:
	s_wait_kmcnt 0x0
	global_store_b128 v0, v[10:13], s[2:3] scale_offset
                                        ; implicit-def: $vgpr0
                                        ; implicit-def: $vgpr2_vgpr3
                                        ; implicit-def: $vgpr10_vgpr11
.LBB120_17:
	s_wait_xcnt 0x0
	s_and_not1_saveexec_b32 s0, s0
	s_cbranch_execz .LBB120_19
; %bb.18:
	s_wait_kmcnt 0x0
	global_load_b128 v[6:9], v0, s[2:3] scale_offset
	s_wait_loadcnt 0x0
	v_fmac_f64_e32 v[10:11], v[2:3], v[6:7]
	v_fmac_f64_e32 v[12:13], v[4:5], v[6:7]
	s_delay_alu instid0(VALU_DEP_2) | instskip(NEXT) | instid1(VALU_DEP_2)
	v_fma_f64 v[10:11], -v[4:5], v[8:9], v[10:11]
	v_fmac_f64_e32 v[12:13], v[2:3], v[8:9]
	global_store_b128 v0, v[10:13], s[2:3] scale_offset
.LBB120_19:
	s_endpgm
	.section	.rodata,"a",@progbits
	.p2align	6, 0x0
	.amdhsa_kernel _ZN9rocsparseL22gebsrmvn_mxn_16_kernelILj60ELj15ELj1E21rocsparse_complex_numIdEEEvi20rocsparse_direction_NS_24const_host_device_scalarIT2_EEPKiS8_PKS5_iiSA_S6_PS5_21rocsparse_index_base_b
		.amdhsa_group_segment_fixed_size 960
		.amdhsa_private_segment_fixed_size 0
		.amdhsa_kernarg_size 96
		.amdhsa_user_sgpr_count 2
		.amdhsa_user_sgpr_dispatch_ptr 0
		.amdhsa_user_sgpr_queue_ptr 0
		.amdhsa_user_sgpr_kernarg_segment_ptr 1
		.amdhsa_user_sgpr_dispatch_id 0
		.amdhsa_user_sgpr_kernarg_preload_length 0
		.amdhsa_user_sgpr_kernarg_preload_offset 0
		.amdhsa_user_sgpr_private_segment_size 0
		.amdhsa_wavefront_size32 1
		.amdhsa_uses_dynamic_stack 0
		.amdhsa_enable_private_segment 0
		.amdhsa_system_sgpr_workgroup_id_x 1
		.amdhsa_system_sgpr_workgroup_id_y 0
		.amdhsa_system_sgpr_workgroup_id_z 0
		.amdhsa_system_sgpr_workgroup_info 0
		.amdhsa_system_vgpr_workitem_id 0
		.amdhsa_next_free_vgpr 24
		.amdhsa_next_free_sgpr 16
		.amdhsa_named_barrier_count 0
		.amdhsa_reserve_vcc 1
		.amdhsa_float_round_mode_32 0
		.amdhsa_float_round_mode_16_64 0
		.amdhsa_float_denorm_mode_32 3
		.amdhsa_float_denorm_mode_16_64 3
		.amdhsa_fp16_overflow 0
		.amdhsa_memory_ordered 1
		.amdhsa_forward_progress 1
		.amdhsa_inst_pref_size 7
		.amdhsa_round_robin_scheduling 0
		.amdhsa_exception_fp_ieee_invalid_op 0
		.amdhsa_exception_fp_denorm_src 0
		.amdhsa_exception_fp_ieee_div_zero 0
		.amdhsa_exception_fp_ieee_overflow 0
		.amdhsa_exception_fp_ieee_underflow 0
		.amdhsa_exception_fp_ieee_inexact 0
		.amdhsa_exception_int_div_zero 0
	.end_amdhsa_kernel
	.section	.text._ZN9rocsparseL22gebsrmvn_mxn_16_kernelILj60ELj15ELj1E21rocsparse_complex_numIdEEEvi20rocsparse_direction_NS_24const_host_device_scalarIT2_EEPKiS8_PKS5_iiSA_S6_PS5_21rocsparse_index_base_b,"axG",@progbits,_ZN9rocsparseL22gebsrmvn_mxn_16_kernelILj60ELj15ELj1E21rocsparse_complex_numIdEEEvi20rocsparse_direction_NS_24const_host_device_scalarIT2_EEPKiS8_PKS5_iiSA_S6_PS5_21rocsparse_index_base_b,comdat
.Lfunc_end120:
	.size	_ZN9rocsparseL22gebsrmvn_mxn_16_kernelILj60ELj15ELj1E21rocsparse_complex_numIdEEEvi20rocsparse_direction_NS_24const_host_device_scalarIT2_EEPKiS8_PKS5_iiSA_S6_PS5_21rocsparse_index_base_b, .Lfunc_end120-_ZN9rocsparseL22gebsrmvn_mxn_16_kernelILj60ELj15ELj1E21rocsparse_complex_numIdEEEvi20rocsparse_direction_NS_24const_host_device_scalarIT2_EEPKiS8_PKS5_iiSA_S6_PS5_21rocsparse_index_base_b
                                        ; -- End function
	.set _ZN9rocsparseL22gebsrmvn_mxn_16_kernelILj60ELj15ELj1E21rocsparse_complex_numIdEEEvi20rocsparse_direction_NS_24const_host_device_scalarIT2_EEPKiS8_PKS5_iiSA_S6_PS5_21rocsparse_index_base_b.num_vgpr, 24
	.set _ZN9rocsparseL22gebsrmvn_mxn_16_kernelILj60ELj15ELj1E21rocsparse_complex_numIdEEEvi20rocsparse_direction_NS_24const_host_device_scalarIT2_EEPKiS8_PKS5_iiSA_S6_PS5_21rocsparse_index_base_b.num_agpr, 0
	.set _ZN9rocsparseL22gebsrmvn_mxn_16_kernelILj60ELj15ELj1E21rocsparse_complex_numIdEEEvi20rocsparse_direction_NS_24const_host_device_scalarIT2_EEPKiS8_PKS5_iiSA_S6_PS5_21rocsparse_index_base_b.numbered_sgpr, 16
	.set _ZN9rocsparseL22gebsrmvn_mxn_16_kernelILj60ELj15ELj1E21rocsparse_complex_numIdEEEvi20rocsparse_direction_NS_24const_host_device_scalarIT2_EEPKiS8_PKS5_iiSA_S6_PS5_21rocsparse_index_base_b.num_named_barrier, 0
	.set _ZN9rocsparseL22gebsrmvn_mxn_16_kernelILj60ELj15ELj1E21rocsparse_complex_numIdEEEvi20rocsparse_direction_NS_24const_host_device_scalarIT2_EEPKiS8_PKS5_iiSA_S6_PS5_21rocsparse_index_base_b.private_seg_size, 0
	.set _ZN9rocsparseL22gebsrmvn_mxn_16_kernelILj60ELj15ELj1E21rocsparse_complex_numIdEEEvi20rocsparse_direction_NS_24const_host_device_scalarIT2_EEPKiS8_PKS5_iiSA_S6_PS5_21rocsparse_index_base_b.uses_vcc, 1
	.set _ZN9rocsparseL22gebsrmvn_mxn_16_kernelILj60ELj15ELj1E21rocsparse_complex_numIdEEEvi20rocsparse_direction_NS_24const_host_device_scalarIT2_EEPKiS8_PKS5_iiSA_S6_PS5_21rocsparse_index_base_b.uses_flat_scratch, 0
	.set _ZN9rocsparseL22gebsrmvn_mxn_16_kernelILj60ELj15ELj1E21rocsparse_complex_numIdEEEvi20rocsparse_direction_NS_24const_host_device_scalarIT2_EEPKiS8_PKS5_iiSA_S6_PS5_21rocsparse_index_base_b.has_dyn_sized_stack, 0
	.set _ZN9rocsparseL22gebsrmvn_mxn_16_kernelILj60ELj15ELj1E21rocsparse_complex_numIdEEEvi20rocsparse_direction_NS_24const_host_device_scalarIT2_EEPKiS8_PKS5_iiSA_S6_PS5_21rocsparse_index_base_b.has_recursion, 0
	.set _ZN9rocsparseL22gebsrmvn_mxn_16_kernelILj60ELj15ELj1E21rocsparse_complex_numIdEEEvi20rocsparse_direction_NS_24const_host_device_scalarIT2_EEPKiS8_PKS5_iiSA_S6_PS5_21rocsparse_index_base_b.has_indirect_call, 0
	.section	.AMDGPU.csdata,"",@progbits
; Kernel info:
; codeLenInByte = 824
; TotalNumSgprs: 18
; NumVgprs: 24
; ScratchSize: 0
; MemoryBound: 0
; FloatMode: 240
; IeeeMode: 1
; LDSByteSize: 960 bytes/workgroup (compile time only)
; SGPRBlocks: 0
; VGPRBlocks: 1
; NumSGPRsForWavesPerEU: 18
; NumVGPRsForWavesPerEU: 24
; NamedBarCnt: 0
; Occupancy: 16
; WaveLimiterHint : 1
; COMPUTE_PGM_RSRC2:SCRATCH_EN: 0
; COMPUTE_PGM_RSRC2:USER_SGPR: 2
; COMPUTE_PGM_RSRC2:TRAP_HANDLER: 0
; COMPUTE_PGM_RSRC2:TGID_X_EN: 1
; COMPUTE_PGM_RSRC2:TGID_Y_EN: 0
; COMPUTE_PGM_RSRC2:TGID_Z_EN: 0
; COMPUTE_PGM_RSRC2:TIDIG_COMP_CNT: 0
	.section	.text._ZN9rocsparseL22gebsrmvn_mxn_16_kernelILj60ELj15ELj2E21rocsparse_complex_numIdEEEvi20rocsparse_direction_NS_24const_host_device_scalarIT2_EEPKiS8_PKS5_iiSA_S6_PS5_21rocsparse_index_base_b,"axG",@progbits,_ZN9rocsparseL22gebsrmvn_mxn_16_kernelILj60ELj15ELj2E21rocsparse_complex_numIdEEEvi20rocsparse_direction_NS_24const_host_device_scalarIT2_EEPKiS8_PKS5_iiSA_S6_PS5_21rocsparse_index_base_b,comdat
	.globl	_ZN9rocsparseL22gebsrmvn_mxn_16_kernelILj60ELj15ELj2E21rocsparse_complex_numIdEEEvi20rocsparse_direction_NS_24const_host_device_scalarIT2_EEPKiS8_PKS5_iiSA_S6_PS5_21rocsparse_index_base_b ; -- Begin function _ZN9rocsparseL22gebsrmvn_mxn_16_kernelILj60ELj15ELj2E21rocsparse_complex_numIdEEEvi20rocsparse_direction_NS_24const_host_device_scalarIT2_EEPKiS8_PKS5_iiSA_S6_PS5_21rocsparse_index_base_b
	.p2align	8
	.type	_ZN9rocsparseL22gebsrmvn_mxn_16_kernelILj60ELj15ELj2E21rocsparse_complex_numIdEEEvi20rocsparse_direction_NS_24const_host_device_scalarIT2_EEPKiS8_PKS5_iiSA_S6_PS5_21rocsparse_index_base_b,@function
_ZN9rocsparseL22gebsrmvn_mxn_16_kernelILj60ELj15ELj2E21rocsparse_complex_numIdEEEvi20rocsparse_direction_NS_24const_host_device_scalarIT2_EEPKiS8_PKS5_iiSA_S6_PS5_21rocsparse_index_base_b: ; @_ZN9rocsparseL22gebsrmvn_mxn_16_kernelILj60ELj15ELj2E21rocsparse_complex_numIdEEEvi20rocsparse_direction_NS_24const_host_device_scalarIT2_EEPKiS8_PKS5_iiSA_S6_PS5_21rocsparse_index_base_b
; %bb.0:
	s_clause 0x1
	s_load_b64 s[10:11], s[0:1], 0x58
	s_load_b64 s[2:3], s[0:1], 0x8
	v_mov_b32_e32 v1, 0
	s_add_nc_u64 s[4:5], s[0:1], 8
	s_load_b64 s[6:7], s[0:1], 0x40
	s_wait_kmcnt 0x0
	s_bitcmp1_b32 s11, 0
	s_cselect_b32 s3, s5, s3
	s_cselect_b32 s2, s4, s2
	flat_load_b128 v[6:9], v1, s[2:3]
	s_wait_xcnt 0x0
	s_add_nc_u64 s[2:3], s[0:1], 64
	s_delay_alu instid0(SALU_CYCLE_1)
	s_cselect_b32 s3, s3, s7
	s_cselect_b32 s2, s2, s6
	flat_load_b128 v[2:5], v1, s[2:3]
	s_wait_loadcnt_dscnt 0x101
	v_cmp_eq_f64_e32 vcc_lo, 0, v[6:7]
	s_wait_xcnt 0x0
	v_cmp_eq_f64_e64 s2, 0, v[8:9]
	s_and_b32 s4, vcc_lo, s2
	s_mov_b32 s2, -1
	s_and_saveexec_b32 s3, s4
	s_cbranch_execz .LBB121_2
; %bb.1:
	s_wait_loadcnt_dscnt 0x0
	v_cmp_neq_f64_e32 vcc_lo, 1.0, v[2:3]
	v_cmp_neq_f64_e64 s2, 0, v[4:5]
	s_or_b32 s2, vcc_lo, s2
	s_delay_alu instid0(SALU_CYCLE_1)
	s_or_not1_b32 s2, s2, exec_lo
.LBB121_2:
	s_or_b32 exec_lo, exec_lo, s3
	s_and_saveexec_b32 s3, s2
	s_cbranch_execz .LBB121_29
; %bb.3:
	s_clause 0x1
	s_load_b32 s4, s[0:1], 0x4
	s_load_b64 s[2:3], s[0:1], 0x18
	v_and_b32_e32 v1, 1, v0
	s_delay_alu instid0(VALU_DEP_1) | instskip(SKIP_3) | instid1(SALU_CYCLE_1)
	v_mov_b32_e32 v14, v1
	s_wait_kmcnt 0x0
	s_cmp_lg_u32 s4, 1
	s_cselect_b32 s11, -1, 0
	s_and_b32 vcc_lo, exec_lo, s11
	s_cbranch_vccnz .LBB121_5
; %bb.4:
	v_mul_u32_u24_e32 v10, 0x1112, v0
	s_delay_alu instid0(VALU_DEP_1)
	v_bfe_u32 v14, v10, 16, 1
.LBB121_5:
	s_bfe_u32 s4, ttmp6, 0x4000c
	s_and_b32 s5, ttmp6, 15
	s_add_co_i32 s4, s4, 1
	s_getreg_b32 s6, hwreg(HW_REG_IB_STS2, 6, 4)
	s_mul_i32 s4, ttmp9, s4
	v_mov_b64_e32 v[12:13], 0
	s_add_co_i32 s5, s5, s4
	s_cmp_eq_u32 s6, 0
	v_mov_b64_e32 v[10:11], 0
	s_cselect_b32 s8, ttmp9, s5
	s_delay_alu instid0(SALU_CYCLE_1) | instskip(NEXT) | instid1(SALU_CYCLE_1)
	s_ashr_i32 s9, s8, 31
	s_lshl_b64 s[4:5], s[8:9], 2
	s_delay_alu instid0(SALU_CYCLE_1)
	s_add_nc_u64 s[4:5], s[2:3], s[4:5]
	s_load_b64 s[14:15], s[4:5], 0x0
	s_load_b64 s[2:3], s[0:1], 0x50
	s_wait_kmcnt 0x0
	s_cmp_ge_i32 s14, s15
	s_cbranch_scc1 .LBB121_10
; %bb.6:
	s_clause 0x1
	s_load_b128 s[4:7], s[0:1], 0x20
	s_load_b64 s[12:13], s[0:1], 0x38
	v_mad_u32 v10, s14, 30, v0
	v_mov_b64_e32 v[12:13], 0
	v_mul_u32_u24_e32 v11, 0x889, v0
	s_wait_xcnt 0x0
	s_mul_i32 s0, s10, 30
	s_sub_co_i32 s1, s14, s10
	s_delay_alu instid0(VALU_DEP_1) | instskip(NEXT) | instid1(VALU_DEP_4)
	v_lshrrev_b32_e32 v15, 16, v11
	v_subrev_nc_u32_e32 v16, s0, v10
	v_mov_b64_e32 v[10:11], v[12:13]
	s_sub_co_i32 s0, s15, s10
	s_branch .LBB121_8
.LBB121_7:                              ;   in Loop: Header=BB121_8 Depth=1
	s_or_b32 exec_lo, exec_lo, s9
	v_add_nc_u32_e32 v16, 60, v16
	s_add_co_i32 s1, s1, 2
	s_delay_alu instid0(SALU_CYCLE_1)
	s_cmp_ge_i32 s1, s0
	s_cbranch_scc1 .LBB121_10
.LBB121_8:                              ; =>This Inner Loop Header: Depth=1
	v_add_nc_u32_e32 v17, s1, v15
	s_mov_b32 s9, exec_lo
	s_delay_alu instid0(VALU_DEP_1)
	v_cmpx_gt_i32_e64 s0, v17
	s_cbranch_execz .LBB121_7
; %bb.9:                                ;   in Loop: Header=BB121_8 Depth=1
	s_wait_kmcnt 0x0
	global_load_b32 v17, v17, s[4:5] scale_offset
	s_wait_loadcnt 0x0
	v_subrev_nc_u32_e32 v17, s10, v17
	s_delay_alu instid0(VALU_DEP_1)
	v_lshl_or_b32 v17, v17, 1, v14
	global_load_b128 v[18:21], v16, s[6:7] scale_offset
	global_load_b128 v[22:25], v17, s[12:13] scale_offset
	s_wait_loadcnt 0x0
	v_fmac_f64_e32 v[10:11], v[18:19], v[22:23]
	v_fmac_f64_e32 v[12:13], v[20:21], v[22:23]
	s_delay_alu instid0(VALU_DEP_2) | instskip(NEXT) | instid1(VALU_DEP_2)
	v_fma_f64 v[10:11], -v[20:21], v[24:25], v[10:11]
	v_fmac_f64_e32 v[12:13], v[18:19], v[24:25]
	s_branch .LBB121_7
.LBB121_10:
	v_lshlrev_b32_e32 v18, 4, v0
	s_mov_b32 s0, exec_lo
	ds_store_b128 v18, v[10:13]
	s_wait_loadcnt_dscnt 0x0
	s_barrier_signal -1
	s_barrier_wait -1
	v_cmpx_gt_u32_e32 30, v0
	s_cbranch_execz .LBB121_12
; %bb.11:
	ds_load_b128 v[14:17], v18 offset:480
	ds_load_b128 v[20:23], v18
	s_wait_dscnt 0x0
	v_add_f64_e32 v[14:15], v[14:15], v[20:21]
	v_add_f64_e32 v[16:17], v[16:17], v[22:23]
	ds_store_b128 v18, v[14:17]
.LBB121_12:
	s_or_b32 exec_lo, exec_lo, s0
	s_delay_alu instid0(SALU_CYCLE_1)
	s_and_b32 vcc_lo, exec_lo, s11
	s_wait_dscnt 0x0
	s_barrier_signal -1
	s_barrier_wait -1
	s_cbranch_vccz .LBB121_18
; %bb.13:
	s_mov_b32 s0, exec_lo
	v_cmpx_eq_u32_e32 0, v1
	s_cbranch_execz .LBB121_15
; %bb.14:
	ds_load_b128 v[14:17], v18
	ds_load_b128 v[20:23], v18 offset:16
	s_wait_dscnt 0x0
	v_add_f64_e32 v[14:15], v[20:21], v[14:15]
	v_add_f64_e32 v[16:17], v[22:23], v[16:17]
	ds_store_b128 v18, v[14:17]
.LBB121_15:
	s_or_b32 exec_lo, exec_lo, s0
	v_mov_b64_e32 v[16:17], v[12:13]
	v_mov_b64_e32 v[14:15], v[10:11]
	s_mov_b32 s0, exec_lo
	s_wait_dscnt 0x0
	s_barrier_signal -1
	s_barrier_wait -1
	v_cmpx_gt_u32_e32 15, v0
; %bb.16:
	v_lshl_add_u32 v1, v0, 4, v18
	ds_load_b128 v[14:17], v1
; %bb.17:
	s_or_b32 exec_lo, exec_lo, s0
	s_branch .LBB121_24
.LBB121_18:
                                        ; implicit-def: $vgpr16_vgpr17
	s_cbranch_execz .LBB121_24
; %bb.19:
	s_mov_b32 s0, exec_lo
	v_cmpx_lt_u32_e32 14, v0
	s_xor_b32 s0, exec_lo, s0
	s_cbranch_execz .LBB121_21
; %bb.20:
	s_wait_dscnt 0x0
                                        ; implicit-def: $vgpr18
.LBB121_21:
	s_and_not1_saveexec_b32 s0, s0
	s_cbranch_execz .LBB121_23
; %bb.22:
	ds_load_b128 v[10:13], v18 offset:240
	s_wait_dscnt 0x1
	ds_load_b128 v[14:17], v18
	s_wait_dscnt 0x0
	v_add_f64_e32 v[10:11], v[10:11], v[14:15]
	v_add_f64_e32 v[12:13], v[12:13], v[16:17]
	ds_store_b128 v18, v[10:13]
	s_wait_dscnt 0x0
	ds_load_b128 v[10:13], v18
.LBB121_23:
	s_or_b32 exec_lo, exec_lo, s0
	s_wait_dscnt 0x0
	v_mov_b64_e32 v[14:15], v[10:11]
	v_mov_b64_e32 v[16:17], v[12:13]
.LBB121_24:
	v_cmp_gt_u32_e32 vcc_lo, 15, v0
	s_and_b32 exec_lo, exec_lo, vcc_lo
	s_cbranch_execz .LBB121_29
; %bb.25:
	s_wait_dscnt 0x0
	s_delay_alu instid0(VALU_DEP_2)
	v_mul_f64_e64 v[10:11], v[16:17], -v[8:9]
	v_mul_f64_e32 v[12:13], v[6:7], v[16:17]
	v_cmp_eq_f64_e32 vcc_lo, 0, v[2:3]
	v_cmp_eq_f64_e64 s0, 0, v[4:5]
	v_mad_u32 v0, s8, 15, v0
	v_fmac_f64_e32 v[10:11], v[6:7], v[14:15]
	v_fmac_f64_e32 v[12:13], v[8:9], v[14:15]
	s_and_b32 s0, vcc_lo, s0
	s_delay_alu instid0(SALU_CYCLE_1) | instskip(NEXT) | instid1(SALU_CYCLE_1)
	s_and_saveexec_b32 s1, s0
	s_xor_b32 s0, exec_lo, s1
	s_cbranch_execz .LBB121_27
; %bb.26:
	global_store_b128 v0, v[10:13], s[2:3] scale_offset
                                        ; implicit-def: $vgpr0
                                        ; implicit-def: $vgpr2_vgpr3
                                        ; implicit-def: $vgpr10_vgpr11
.LBB121_27:
	s_wait_xcnt 0x0
	s_and_not1_saveexec_b32 s0, s0
	s_cbranch_execz .LBB121_29
; %bb.28:
	global_load_b128 v[6:9], v0, s[2:3] scale_offset
	s_wait_loadcnt 0x0
	v_fmac_f64_e32 v[10:11], v[2:3], v[6:7]
	v_fmac_f64_e32 v[12:13], v[4:5], v[6:7]
	s_delay_alu instid0(VALU_DEP_2) | instskip(NEXT) | instid1(VALU_DEP_2)
	v_fma_f64 v[10:11], -v[4:5], v[8:9], v[10:11]
	v_fmac_f64_e32 v[12:13], v[2:3], v[8:9]
	global_store_b128 v0, v[10:13], s[2:3] scale_offset
.LBB121_29:
	s_endpgm
	.section	.rodata,"a",@progbits
	.p2align	6, 0x0
	.amdhsa_kernel _ZN9rocsparseL22gebsrmvn_mxn_16_kernelILj60ELj15ELj2E21rocsparse_complex_numIdEEEvi20rocsparse_direction_NS_24const_host_device_scalarIT2_EEPKiS8_PKS5_iiSA_S6_PS5_21rocsparse_index_base_b
		.amdhsa_group_segment_fixed_size 960
		.amdhsa_private_segment_fixed_size 0
		.amdhsa_kernarg_size 96
		.amdhsa_user_sgpr_count 2
		.amdhsa_user_sgpr_dispatch_ptr 0
		.amdhsa_user_sgpr_queue_ptr 0
		.amdhsa_user_sgpr_kernarg_segment_ptr 1
		.amdhsa_user_sgpr_dispatch_id 0
		.amdhsa_user_sgpr_kernarg_preload_length 0
		.amdhsa_user_sgpr_kernarg_preload_offset 0
		.amdhsa_user_sgpr_private_segment_size 0
		.amdhsa_wavefront_size32 1
		.amdhsa_uses_dynamic_stack 0
		.amdhsa_enable_private_segment 0
		.amdhsa_system_sgpr_workgroup_id_x 1
		.amdhsa_system_sgpr_workgroup_id_y 0
		.amdhsa_system_sgpr_workgroup_id_z 0
		.amdhsa_system_sgpr_workgroup_info 0
		.amdhsa_system_vgpr_workitem_id 0
		.amdhsa_next_free_vgpr 26
		.amdhsa_next_free_sgpr 16
		.amdhsa_named_barrier_count 0
		.amdhsa_reserve_vcc 1
		.amdhsa_float_round_mode_32 0
		.amdhsa_float_round_mode_16_64 0
		.amdhsa_float_denorm_mode_32 3
		.amdhsa_float_denorm_mode_16_64 3
		.amdhsa_fp16_overflow 0
		.amdhsa_memory_ordered 1
		.amdhsa_forward_progress 1
		.amdhsa_inst_pref_size 8
		.amdhsa_round_robin_scheduling 0
		.amdhsa_exception_fp_ieee_invalid_op 0
		.amdhsa_exception_fp_denorm_src 0
		.amdhsa_exception_fp_ieee_div_zero 0
		.amdhsa_exception_fp_ieee_overflow 0
		.amdhsa_exception_fp_ieee_underflow 0
		.amdhsa_exception_fp_ieee_inexact 0
		.amdhsa_exception_int_div_zero 0
	.end_amdhsa_kernel
	.section	.text._ZN9rocsparseL22gebsrmvn_mxn_16_kernelILj60ELj15ELj2E21rocsparse_complex_numIdEEEvi20rocsparse_direction_NS_24const_host_device_scalarIT2_EEPKiS8_PKS5_iiSA_S6_PS5_21rocsparse_index_base_b,"axG",@progbits,_ZN9rocsparseL22gebsrmvn_mxn_16_kernelILj60ELj15ELj2E21rocsparse_complex_numIdEEEvi20rocsparse_direction_NS_24const_host_device_scalarIT2_EEPKiS8_PKS5_iiSA_S6_PS5_21rocsparse_index_base_b,comdat
.Lfunc_end121:
	.size	_ZN9rocsparseL22gebsrmvn_mxn_16_kernelILj60ELj15ELj2E21rocsparse_complex_numIdEEEvi20rocsparse_direction_NS_24const_host_device_scalarIT2_EEPKiS8_PKS5_iiSA_S6_PS5_21rocsparse_index_base_b, .Lfunc_end121-_ZN9rocsparseL22gebsrmvn_mxn_16_kernelILj60ELj15ELj2E21rocsparse_complex_numIdEEEvi20rocsparse_direction_NS_24const_host_device_scalarIT2_EEPKiS8_PKS5_iiSA_S6_PS5_21rocsparse_index_base_b
                                        ; -- End function
	.set _ZN9rocsparseL22gebsrmvn_mxn_16_kernelILj60ELj15ELj2E21rocsparse_complex_numIdEEEvi20rocsparse_direction_NS_24const_host_device_scalarIT2_EEPKiS8_PKS5_iiSA_S6_PS5_21rocsparse_index_base_b.num_vgpr, 26
	.set _ZN9rocsparseL22gebsrmvn_mxn_16_kernelILj60ELj15ELj2E21rocsparse_complex_numIdEEEvi20rocsparse_direction_NS_24const_host_device_scalarIT2_EEPKiS8_PKS5_iiSA_S6_PS5_21rocsparse_index_base_b.num_agpr, 0
	.set _ZN9rocsparseL22gebsrmvn_mxn_16_kernelILj60ELj15ELj2E21rocsparse_complex_numIdEEEvi20rocsparse_direction_NS_24const_host_device_scalarIT2_EEPKiS8_PKS5_iiSA_S6_PS5_21rocsparse_index_base_b.numbered_sgpr, 16
	.set _ZN9rocsparseL22gebsrmvn_mxn_16_kernelILj60ELj15ELj2E21rocsparse_complex_numIdEEEvi20rocsparse_direction_NS_24const_host_device_scalarIT2_EEPKiS8_PKS5_iiSA_S6_PS5_21rocsparse_index_base_b.num_named_barrier, 0
	.set _ZN9rocsparseL22gebsrmvn_mxn_16_kernelILj60ELj15ELj2E21rocsparse_complex_numIdEEEvi20rocsparse_direction_NS_24const_host_device_scalarIT2_EEPKiS8_PKS5_iiSA_S6_PS5_21rocsparse_index_base_b.private_seg_size, 0
	.set _ZN9rocsparseL22gebsrmvn_mxn_16_kernelILj60ELj15ELj2E21rocsparse_complex_numIdEEEvi20rocsparse_direction_NS_24const_host_device_scalarIT2_EEPKiS8_PKS5_iiSA_S6_PS5_21rocsparse_index_base_b.uses_vcc, 1
	.set _ZN9rocsparseL22gebsrmvn_mxn_16_kernelILj60ELj15ELj2E21rocsparse_complex_numIdEEEvi20rocsparse_direction_NS_24const_host_device_scalarIT2_EEPKiS8_PKS5_iiSA_S6_PS5_21rocsparse_index_base_b.uses_flat_scratch, 0
	.set _ZN9rocsparseL22gebsrmvn_mxn_16_kernelILj60ELj15ELj2E21rocsparse_complex_numIdEEEvi20rocsparse_direction_NS_24const_host_device_scalarIT2_EEPKiS8_PKS5_iiSA_S6_PS5_21rocsparse_index_base_b.has_dyn_sized_stack, 0
	.set _ZN9rocsparseL22gebsrmvn_mxn_16_kernelILj60ELj15ELj2E21rocsparse_complex_numIdEEEvi20rocsparse_direction_NS_24const_host_device_scalarIT2_EEPKiS8_PKS5_iiSA_S6_PS5_21rocsparse_index_base_b.has_recursion, 0
	.set _ZN9rocsparseL22gebsrmvn_mxn_16_kernelILj60ELj15ELj2E21rocsparse_complex_numIdEEEvi20rocsparse_direction_NS_24const_host_device_scalarIT2_EEPKiS8_PKS5_iiSA_S6_PS5_21rocsparse_index_base_b.has_indirect_call, 0
	.section	.AMDGPU.csdata,"",@progbits
; Kernel info:
; codeLenInByte = 1016
; TotalNumSgprs: 18
; NumVgprs: 26
; ScratchSize: 0
; MemoryBound: 0
; FloatMode: 240
; IeeeMode: 1
; LDSByteSize: 960 bytes/workgroup (compile time only)
; SGPRBlocks: 0
; VGPRBlocks: 1
; NumSGPRsForWavesPerEU: 18
; NumVGPRsForWavesPerEU: 26
; NamedBarCnt: 0
; Occupancy: 16
; WaveLimiterHint : 1
; COMPUTE_PGM_RSRC2:SCRATCH_EN: 0
; COMPUTE_PGM_RSRC2:USER_SGPR: 2
; COMPUTE_PGM_RSRC2:TRAP_HANDLER: 0
; COMPUTE_PGM_RSRC2:TGID_X_EN: 1
; COMPUTE_PGM_RSRC2:TGID_Y_EN: 0
; COMPUTE_PGM_RSRC2:TGID_Z_EN: 0
; COMPUTE_PGM_RSRC2:TIDIG_COMP_CNT: 0
	.section	.text._ZN9rocsparseL22gebsrmvn_mxn_16_kernelILj45ELj15ELj3E21rocsparse_complex_numIdEEEvi20rocsparse_direction_NS_24const_host_device_scalarIT2_EEPKiS8_PKS5_iiSA_S6_PS5_21rocsparse_index_base_b,"axG",@progbits,_ZN9rocsparseL22gebsrmvn_mxn_16_kernelILj45ELj15ELj3E21rocsparse_complex_numIdEEEvi20rocsparse_direction_NS_24const_host_device_scalarIT2_EEPKiS8_PKS5_iiSA_S6_PS5_21rocsparse_index_base_b,comdat
	.globl	_ZN9rocsparseL22gebsrmvn_mxn_16_kernelILj45ELj15ELj3E21rocsparse_complex_numIdEEEvi20rocsparse_direction_NS_24const_host_device_scalarIT2_EEPKiS8_PKS5_iiSA_S6_PS5_21rocsparse_index_base_b ; -- Begin function _ZN9rocsparseL22gebsrmvn_mxn_16_kernelILj45ELj15ELj3E21rocsparse_complex_numIdEEEvi20rocsparse_direction_NS_24const_host_device_scalarIT2_EEPKiS8_PKS5_iiSA_S6_PS5_21rocsparse_index_base_b
	.p2align	8
	.type	_ZN9rocsparseL22gebsrmvn_mxn_16_kernelILj45ELj15ELj3E21rocsparse_complex_numIdEEEvi20rocsparse_direction_NS_24const_host_device_scalarIT2_EEPKiS8_PKS5_iiSA_S6_PS5_21rocsparse_index_base_b,@function
_ZN9rocsparseL22gebsrmvn_mxn_16_kernelILj45ELj15ELj3E21rocsparse_complex_numIdEEEvi20rocsparse_direction_NS_24const_host_device_scalarIT2_EEPKiS8_PKS5_iiSA_S6_PS5_21rocsparse_index_base_b: ; @_ZN9rocsparseL22gebsrmvn_mxn_16_kernelILj45ELj15ELj3E21rocsparse_complex_numIdEEEvi20rocsparse_direction_NS_24const_host_device_scalarIT2_EEPKiS8_PKS5_iiSA_S6_PS5_21rocsparse_index_base_b
; %bb.0:
	s_clause 0x1
	s_load_b64 s[10:11], s[0:1], 0x58
	s_load_b64 s[2:3], s[0:1], 0x8
	v_mov_b32_e32 v1, 0
	s_add_nc_u64 s[4:5], s[0:1], 8
	s_load_b64 s[6:7], s[0:1], 0x40
	s_wait_kmcnt 0x0
	s_bitcmp1_b32 s11, 0
	s_cselect_b32 s3, s5, s3
	s_cselect_b32 s2, s4, s2
	flat_load_b128 v[6:9], v1, s[2:3]
	s_wait_xcnt 0x0
	s_add_nc_u64 s[2:3], s[0:1], 64
	s_delay_alu instid0(SALU_CYCLE_1)
	s_cselect_b32 s3, s3, s7
	s_cselect_b32 s2, s2, s6
	flat_load_b128 v[2:5], v1, s[2:3]
	s_wait_loadcnt_dscnt 0x101
	v_cmp_eq_f64_e32 vcc_lo, 0, v[6:7]
	s_wait_xcnt 0x0
	v_cmp_eq_f64_e64 s2, 0, v[8:9]
	s_and_b32 s4, vcc_lo, s2
	s_mov_b32 s2, -1
	s_and_saveexec_b32 s3, s4
	s_cbranch_execz .LBB122_2
; %bb.1:
	s_wait_loadcnt_dscnt 0x0
	v_cmp_neq_f64_e32 vcc_lo, 1.0, v[2:3]
	v_cmp_neq_f64_e64 s2, 0, v[4:5]
	s_or_b32 s2, vcc_lo, s2
	s_delay_alu instid0(SALU_CYCLE_1)
	s_or_not1_b32 s2, s2, exec_lo
.LBB122_2:
	s_or_b32 exec_lo, exec_lo, s3
	s_and_saveexec_b32 s3, s2
	s_cbranch_execz .LBB122_31
; %bb.3:
	v_mul_u32_u24_e32 v1, 0x5556, v0
	s_clause 0x1
	s_load_b32 s4, s[0:1], 0x4
	s_load_b64 s[2:3], s[0:1], 0x18
	v_and_b32_e32 v15, 0xffff, v0
	v_lshrrev_b32_e32 v1, 16, v1
	s_delay_alu instid0(VALU_DEP_1) | instskip(NEXT) | instid1(VALU_DEP_1)
	v_mul_lo_u16 v1, v1, 3
	v_sub_nc_u16 v1, v0, v1
	s_delay_alu instid0(VALU_DEP_1) | instskip(SKIP_3) | instid1(SALU_CYCLE_1)
	v_and_b32_e32 v14, 0xffff, v1
	s_wait_kmcnt 0x0
	s_cmp_lg_u32 s4, 1
	s_cselect_b32 s11, -1, 0
	s_and_b32 vcc_lo, exec_lo, s11
	v_mov_b32_e32 v1, v14
	s_cbranch_vccnz .LBB122_5
; %bb.4:
	v_mul_u32_u24_e32 v1, 0x1112, v15
	s_delay_alu instid0(VALU_DEP_1) | instskip(NEXT) | instid1(VALU_DEP_1)
	v_lshrrev_b32_e32 v1, 16, v1
	v_mul_lo_u16 v10, 0x56, v1
	s_delay_alu instid0(VALU_DEP_1) | instskip(NEXT) | instid1(VALU_DEP_1)
	v_lshrrev_b16 v10, 8, v10
	v_mul_lo_u16 v10, v10, 3
	s_delay_alu instid0(VALU_DEP_1) | instskip(NEXT) | instid1(VALU_DEP_1)
	v_sub_nc_u16 v1, v1, v10
	v_and_b32_e32 v1, 0xff, v1
.LBB122_5:
	s_bfe_u32 s4, ttmp6, 0x4000c
	s_and_b32 s5, ttmp6, 15
	s_add_co_i32 s4, s4, 1
	s_getreg_b32 s6, hwreg(HW_REG_IB_STS2, 6, 4)
	s_mul_i32 s4, ttmp9, s4
	v_mov_b64_e32 v[12:13], 0
	s_add_co_i32 s5, s5, s4
	s_cmp_eq_u32 s6, 0
	v_mov_b64_e32 v[10:11], 0
	s_cselect_b32 s8, ttmp9, s5
	s_delay_alu instid0(SALU_CYCLE_1) | instskip(NEXT) | instid1(SALU_CYCLE_1)
	s_ashr_i32 s9, s8, 31
	s_lshl_b64 s[4:5], s[8:9], 2
	s_delay_alu instid0(SALU_CYCLE_1)
	s_add_nc_u64 s[4:5], s[2:3], s[4:5]
	s_load_b64 s[14:15], s[4:5], 0x0
	s_load_b64 s[2:3], s[0:1], 0x50
	s_wait_kmcnt 0x0
	s_cmp_ge_i32 s14, s15
	s_cbranch_scc1 .LBB122_10
; %bb.6:
	s_clause 0x1
	s_load_b128 s[4:7], s[0:1], 0x20
	s_load_b64 s[12:13], s[0:1], 0x38
	v_mad_u32 v10, s14, 45, v0
	v_mov_b64_e32 v[12:13], 0
	v_mul_u32_u24_e32 v11, 0x5b1, v15
	s_wait_xcnt 0x0
	s_mul_i32 s0, s10, 45
	s_sub_co_i32 s1, s14, s10
	s_delay_alu instid0(VALU_DEP_1) | instskip(NEXT) | instid1(VALU_DEP_4)
	v_lshrrev_b32_e32 v15, 16, v11
	v_subrev_nc_u32_e32 v16, s0, v10
	v_mov_b64_e32 v[10:11], v[12:13]
	s_sub_co_i32 s0, s15, s10
	s_branch .LBB122_8
.LBB122_7:                              ;   in Loop: Header=BB122_8 Depth=1
	s_or_b32 exec_lo, exec_lo, s9
	v_add_nc_u32_e32 v16, 45, v16
	s_add_co_i32 s1, s1, 1
	s_delay_alu instid0(SALU_CYCLE_1)
	s_cmp_ge_i32 s1, s0
	s_cbranch_scc1 .LBB122_10
.LBB122_8:                              ; =>This Inner Loop Header: Depth=1
	v_add_nc_u32_e32 v17, s1, v15
	s_mov_b32 s9, exec_lo
	s_delay_alu instid0(VALU_DEP_1)
	v_cmpx_gt_i32_e64 s0, v17
	s_cbranch_execz .LBB122_7
; %bb.9:                                ;   in Loop: Header=BB122_8 Depth=1
	s_wait_kmcnt 0x0
	global_load_b32 v17, v17, s[4:5] scale_offset
	s_wait_loadcnt 0x0
	v_subrev_nc_u32_e32 v17, s10, v17
	s_delay_alu instid0(VALU_DEP_1)
	v_mad_u32 v17, v17, 3, v1
	global_load_b128 v[18:21], v16, s[6:7] scale_offset
	global_load_b128 v[22:25], v17, s[12:13] scale_offset
	s_wait_loadcnt 0x0
	v_fmac_f64_e32 v[10:11], v[18:19], v[22:23]
	v_fmac_f64_e32 v[12:13], v[20:21], v[22:23]
	s_delay_alu instid0(VALU_DEP_2) | instskip(NEXT) | instid1(VALU_DEP_2)
	v_fma_f64 v[10:11], -v[20:21], v[24:25], v[10:11]
	v_fmac_f64_e32 v[12:13], v[18:19], v[24:25]
	s_branch .LBB122_7
.LBB122_10:
	v_lshlrev_b32_e32 v1, 4, v0
	s_and_b32 vcc_lo, exec_lo, s11
	ds_store_b128 v1, v[10:13]
	s_wait_loadcnt_dscnt 0x0
	s_barrier_signal -1
	s_barrier_wait -1
	s_cbranch_vccz .LBB122_18
; %bb.11:
	v_cmp_eq_u16_e32 vcc_lo, 0, v14
	s_and_saveexec_b32 s0, vcc_lo
	s_cbranch_execz .LBB122_13
; %bb.12:
	ds_load_b128 v[14:17], v1
	ds_load_b128 v[18:21], v1 offset:32
	s_wait_dscnt 0x0
	v_add_f64_e32 v[14:15], v[18:19], v[14:15]
	v_add_f64_e32 v[16:17], v[20:21], v[16:17]
	ds_store_b128 v1, v[14:17]
.LBB122_13:
	s_or_b32 exec_lo, exec_lo, s0
	s_wait_dscnt 0x0
	s_barrier_signal -1
	s_barrier_wait -1
	s_and_saveexec_b32 s0, vcc_lo
	s_cbranch_execz .LBB122_15
; %bb.14:
	ds_load_b128 v[14:17], v1
	ds_load_b128 v[18:21], v1 offset:16
	s_wait_dscnt 0x0
	v_add_f64_e32 v[14:15], v[18:19], v[14:15]
	v_add_f64_e32 v[16:17], v[20:21], v[16:17]
	ds_store_b128 v1, v[14:17]
.LBB122_15:
	s_or_b32 exec_lo, exec_lo, s0
	v_mov_b64_e32 v[16:17], v[12:13]
	v_mov_b64_e32 v[14:15], v[10:11]
	s_mov_b32 s0, exec_lo
	s_wait_dscnt 0x0
	s_barrier_signal -1
	s_barrier_wait -1
	v_cmpx_gt_u32_e32 15, v0
; %bb.16:
	v_lshl_add_u32 v14, v0, 5, v1
	ds_load_b128 v[14:17], v14
; %bb.17:
	s_or_b32 exec_lo, exec_lo, s0
	v_cmp_gt_u32_e64 s0, 15, v0
	s_branch .LBB122_26
.LBB122_18:
                                        ; implicit-def: $vgpr16_vgpr17
	v_cmp_gt_u32_e64 s0, 15, v0
	s_cbranch_execz .LBB122_26
; %bb.19:
	v_cmp_lt_u32_e32 vcc_lo, 14, v0
	s_and_saveexec_b32 s1, s0
	s_cbranch_execz .LBB122_21
; %bb.20:
	s_wait_dscnt 0x0
	ds_load_b128 v[14:17], v1 offset:480
	ds_load_b128 v[18:21], v1
	s_wait_dscnt 0x0
	v_add_f64_e32 v[14:15], v[14:15], v[18:19]
	v_add_f64_e32 v[16:17], v[16:17], v[20:21]
	ds_store_b128 v1, v[14:17]
.LBB122_21:
	s_or_b32 exec_lo, exec_lo, s1
	s_wait_dscnt 0x0
	s_barrier_signal -1
	s_barrier_wait -1
	s_and_saveexec_b32 s0, vcc_lo
	s_delay_alu instid0(SALU_CYCLE_1)
	s_xor_b32 s0, exec_lo, s0
; %bb.22:
                                        ; implicit-def: $vgpr1
; %bb.23:
	s_delay_alu instid0(SALU_CYCLE_1)
	s_and_not1_saveexec_b32 s0, s0
	s_cbranch_execz .LBB122_25
; %bb.24:
	ds_load_b128 v[10:13], v1 offset:240
	ds_load_b128 v[14:17], v1
	s_wait_dscnt 0x0
	v_add_f64_e32 v[10:11], v[10:11], v[14:15]
	v_add_f64_e32 v[12:13], v[12:13], v[16:17]
	ds_store_b128 v1, v[10:13]
	s_wait_dscnt 0x0
	ds_load_b128 v[10:13], v1
.LBB122_25:
	s_or_b32 exec_lo, exec_lo, s0
	s_wait_dscnt 0x0
	v_mov_b64_e32 v[16:17], v[12:13]
	v_mov_b64_e32 v[14:15], v[10:11]
.LBB122_26:
	v_cmp_gt_u32_e32 vcc_lo, 15, v0
	s_and_b32 exec_lo, exec_lo, vcc_lo
	s_cbranch_execz .LBB122_31
; %bb.27:
	s_wait_dscnt 0x0
	s_delay_alu instid0(VALU_DEP_3)
	v_mul_f64_e64 v[10:11], v[16:17], -v[8:9]
	v_mul_f64_e32 v[12:13], v[6:7], v[16:17]
	v_cmp_eq_f64_e32 vcc_lo, 0, v[2:3]
	v_cmp_eq_f64_e64 s0, 0, v[4:5]
	v_mad_u32 v0, s8, 15, v0
	v_fmac_f64_e32 v[10:11], v[6:7], v[14:15]
	v_fmac_f64_e32 v[12:13], v[8:9], v[14:15]
	s_and_b32 s0, vcc_lo, s0
	s_delay_alu instid0(SALU_CYCLE_1) | instskip(NEXT) | instid1(SALU_CYCLE_1)
	s_and_saveexec_b32 s1, s0
	s_xor_b32 s0, exec_lo, s1
	s_cbranch_execz .LBB122_29
; %bb.28:
	global_store_b128 v0, v[10:13], s[2:3] scale_offset
                                        ; implicit-def: $vgpr0
                                        ; implicit-def: $vgpr2_vgpr3
                                        ; implicit-def: $vgpr10_vgpr11
.LBB122_29:
	s_wait_xcnt 0x0
	s_and_not1_saveexec_b32 s0, s0
	s_cbranch_execz .LBB122_31
; %bb.30:
	global_load_b128 v[6:9], v0, s[2:3] scale_offset
	s_wait_loadcnt 0x0
	v_fmac_f64_e32 v[10:11], v[2:3], v[6:7]
	v_fmac_f64_e32 v[12:13], v[4:5], v[6:7]
	s_delay_alu instid0(VALU_DEP_2) | instskip(NEXT) | instid1(VALU_DEP_2)
	v_fma_f64 v[10:11], -v[4:5], v[8:9], v[10:11]
	v_fmac_f64_e32 v[12:13], v[2:3], v[8:9]
	global_store_b128 v0, v[10:13], s[2:3] scale_offset
.LBB122_31:
	s_endpgm
	.section	.rodata,"a",@progbits
	.p2align	6, 0x0
	.amdhsa_kernel _ZN9rocsparseL22gebsrmvn_mxn_16_kernelILj45ELj15ELj3E21rocsparse_complex_numIdEEEvi20rocsparse_direction_NS_24const_host_device_scalarIT2_EEPKiS8_PKS5_iiSA_S6_PS5_21rocsparse_index_base_b
		.amdhsa_group_segment_fixed_size 720
		.amdhsa_private_segment_fixed_size 0
		.amdhsa_kernarg_size 96
		.amdhsa_user_sgpr_count 2
		.amdhsa_user_sgpr_dispatch_ptr 0
		.amdhsa_user_sgpr_queue_ptr 0
		.amdhsa_user_sgpr_kernarg_segment_ptr 1
		.amdhsa_user_sgpr_dispatch_id 0
		.amdhsa_user_sgpr_kernarg_preload_length 0
		.amdhsa_user_sgpr_kernarg_preload_offset 0
		.amdhsa_user_sgpr_private_segment_size 0
		.amdhsa_wavefront_size32 1
		.amdhsa_uses_dynamic_stack 0
		.amdhsa_enable_private_segment 0
		.amdhsa_system_sgpr_workgroup_id_x 1
		.amdhsa_system_sgpr_workgroup_id_y 0
		.amdhsa_system_sgpr_workgroup_id_z 0
		.amdhsa_system_sgpr_workgroup_info 0
		.amdhsa_system_vgpr_workitem_id 0
		.amdhsa_next_free_vgpr 26
		.amdhsa_next_free_sgpr 16
		.amdhsa_named_barrier_count 0
		.amdhsa_reserve_vcc 1
		.amdhsa_float_round_mode_32 0
		.amdhsa_float_round_mode_16_64 0
		.amdhsa_float_denorm_mode_32 3
		.amdhsa_float_denorm_mode_16_64 3
		.amdhsa_fp16_overflow 0
		.amdhsa_memory_ordered 1
		.amdhsa_forward_progress 1
		.amdhsa_inst_pref_size 10
		.amdhsa_round_robin_scheduling 0
		.amdhsa_exception_fp_ieee_invalid_op 0
		.amdhsa_exception_fp_denorm_src 0
		.amdhsa_exception_fp_ieee_div_zero 0
		.amdhsa_exception_fp_ieee_overflow 0
		.amdhsa_exception_fp_ieee_underflow 0
		.amdhsa_exception_fp_ieee_inexact 0
		.amdhsa_exception_int_div_zero 0
	.end_amdhsa_kernel
	.section	.text._ZN9rocsparseL22gebsrmvn_mxn_16_kernelILj45ELj15ELj3E21rocsparse_complex_numIdEEEvi20rocsparse_direction_NS_24const_host_device_scalarIT2_EEPKiS8_PKS5_iiSA_S6_PS5_21rocsparse_index_base_b,"axG",@progbits,_ZN9rocsparseL22gebsrmvn_mxn_16_kernelILj45ELj15ELj3E21rocsparse_complex_numIdEEEvi20rocsparse_direction_NS_24const_host_device_scalarIT2_EEPKiS8_PKS5_iiSA_S6_PS5_21rocsparse_index_base_b,comdat
.Lfunc_end122:
	.size	_ZN9rocsparseL22gebsrmvn_mxn_16_kernelILj45ELj15ELj3E21rocsparse_complex_numIdEEEvi20rocsparse_direction_NS_24const_host_device_scalarIT2_EEPKiS8_PKS5_iiSA_S6_PS5_21rocsparse_index_base_b, .Lfunc_end122-_ZN9rocsparseL22gebsrmvn_mxn_16_kernelILj45ELj15ELj3E21rocsparse_complex_numIdEEEvi20rocsparse_direction_NS_24const_host_device_scalarIT2_EEPKiS8_PKS5_iiSA_S6_PS5_21rocsparse_index_base_b
                                        ; -- End function
	.set _ZN9rocsparseL22gebsrmvn_mxn_16_kernelILj45ELj15ELj3E21rocsparse_complex_numIdEEEvi20rocsparse_direction_NS_24const_host_device_scalarIT2_EEPKiS8_PKS5_iiSA_S6_PS5_21rocsparse_index_base_b.num_vgpr, 26
	.set _ZN9rocsparseL22gebsrmvn_mxn_16_kernelILj45ELj15ELj3E21rocsparse_complex_numIdEEEvi20rocsparse_direction_NS_24const_host_device_scalarIT2_EEPKiS8_PKS5_iiSA_S6_PS5_21rocsparse_index_base_b.num_agpr, 0
	.set _ZN9rocsparseL22gebsrmvn_mxn_16_kernelILj45ELj15ELj3E21rocsparse_complex_numIdEEEvi20rocsparse_direction_NS_24const_host_device_scalarIT2_EEPKiS8_PKS5_iiSA_S6_PS5_21rocsparse_index_base_b.numbered_sgpr, 16
	.set _ZN9rocsparseL22gebsrmvn_mxn_16_kernelILj45ELj15ELj3E21rocsparse_complex_numIdEEEvi20rocsparse_direction_NS_24const_host_device_scalarIT2_EEPKiS8_PKS5_iiSA_S6_PS5_21rocsparse_index_base_b.num_named_barrier, 0
	.set _ZN9rocsparseL22gebsrmvn_mxn_16_kernelILj45ELj15ELj3E21rocsparse_complex_numIdEEEvi20rocsparse_direction_NS_24const_host_device_scalarIT2_EEPKiS8_PKS5_iiSA_S6_PS5_21rocsparse_index_base_b.private_seg_size, 0
	.set _ZN9rocsparseL22gebsrmvn_mxn_16_kernelILj45ELj15ELj3E21rocsparse_complex_numIdEEEvi20rocsparse_direction_NS_24const_host_device_scalarIT2_EEPKiS8_PKS5_iiSA_S6_PS5_21rocsparse_index_base_b.uses_vcc, 1
	.set _ZN9rocsparseL22gebsrmvn_mxn_16_kernelILj45ELj15ELj3E21rocsparse_complex_numIdEEEvi20rocsparse_direction_NS_24const_host_device_scalarIT2_EEPKiS8_PKS5_iiSA_S6_PS5_21rocsparse_index_base_b.uses_flat_scratch, 0
	.set _ZN9rocsparseL22gebsrmvn_mxn_16_kernelILj45ELj15ELj3E21rocsparse_complex_numIdEEEvi20rocsparse_direction_NS_24const_host_device_scalarIT2_EEPKiS8_PKS5_iiSA_S6_PS5_21rocsparse_index_base_b.has_dyn_sized_stack, 0
	.set _ZN9rocsparseL22gebsrmvn_mxn_16_kernelILj45ELj15ELj3E21rocsparse_complex_numIdEEEvi20rocsparse_direction_NS_24const_host_device_scalarIT2_EEPKiS8_PKS5_iiSA_S6_PS5_21rocsparse_index_base_b.has_recursion, 0
	.set _ZN9rocsparseL22gebsrmvn_mxn_16_kernelILj45ELj15ELj3E21rocsparse_complex_numIdEEEvi20rocsparse_direction_NS_24const_host_device_scalarIT2_EEPKiS8_PKS5_iiSA_S6_PS5_21rocsparse_index_base_b.has_indirect_call, 0
	.section	.AMDGPU.csdata,"",@progbits
; Kernel info:
; codeLenInByte = 1176
; TotalNumSgprs: 18
; NumVgprs: 26
; ScratchSize: 0
; MemoryBound: 0
; FloatMode: 240
; IeeeMode: 1
; LDSByteSize: 720 bytes/workgroup (compile time only)
; SGPRBlocks: 0
; VGPRBlocks: 1
; NumSGPRsForWavesPerEU: 18
; NumVGPRsForWavesPerEU: 26
; NamedBarCnt: 0
; Occupancy: 16
; WaveLimiterHint : 1
; COMPUTE_PGM_RSRC2:SCRATCH_EN: 0
; COMPUTE_PGM_RSRC2:USER_SGPR: 2
; COMPUTE_PGM_RSRC2:TRAP_HANDLER: 0
; COMPUTE_PGM_RSRC2:TGID_X_EN: 1
; COMPUTE_PGM_RSRC2:TGID_Y_EN: 0
; COMPUTE_PGM_RSRC2:TGID_Z_EN: 0
; COMPUTE_PGM_RSRC2:TIDIG_COMP_CNT: 0
	.section	.text._ZN9rocsparseL22gebsrmvn_mxn_16_kernelILj60ELj15ELj4E21rocsparse_complex_numIdEEEvi20rocsparse_direction_NS_24const_host_device_scalarIT2_EEPKiS8_PKS5_iiSA_S6_PS5_21rocsparse_index_base_b,"axG",@progbits,_ZN9rocsparseL22gebsrmvn_mxn_16_kernelILj60ELj15ELj4E21rocsparse_complex_numIdEEEvi20rocsparse_direction_NS_24const_host_device_scalarIT2_EEPKiS8_PKS5_iiSA_S6_PS5_21rocsparse_index_base_b,comdat
	.globl	_ZN9rocsparseL22gebsrmvn_mxn_16_kernelILj60ELj15ELj4E21rocsparse_complex_numIdEEEvi20rocsparse_direction_NS_24const_host_device_scalarIT2_EEPKiS8_PKS5_iiSA_S6_PS5_21rocsparse_index_base_b ; -- Begin function _ZN9rocsparseL22gebsrmvn_mxn_16_kernelILj60ELj15ELj4E21rocsparse_complex_numIdEEEvi20rocsparse_direction_NS_24const_host_device_scalarIT2_EEPKiS8_PKS5_iiSA_S6_PS5_21rocsparse_index_base_b
	.p2align	8
	.type	_ZN9rocsparseL22gebsrmvn_mxn_16_kernelILj60ELj15ELj4E21rocsparse_complex_numIdEEEvi20rocsparse_direction_NS_24const_host_device_scalarIT2_EEPKiS8_PKS5_iiSA_S6_PS5_21rocsparse_index_base_b,@function
_ZN9rocsparseL22gebsrmvn_mxn_16_kernelILj60ELj15ELj4E21rocsparse_complex_numIdEEEvi20rocsparse_direction_NS_24const_host_device_scalarIT2_EEPKiS8_PKS5_iiSA_S6_PS5_21rocsparse_index_base_b: ; @_ZN9rocsparseL22gebsrmvn_mxn_16_kernelILj60ELj15ELj4E21rocsparse_complex_numIdEEEvi20rocsparse_direction_NS_24const_host_device_scalarIT2_EEPKiS8_PKS5_iiSA_S6_PS5_21rocsparse_index_base_b
; %bb.0:
	s_clause 0x1
	s_load_b64 s[10:11], s[0:1], 0x58
	s_load_b64 s[2:3], s[0:1], 0x8
	v_mov_b32_e32 v1, 0
	s_add_nc_u64 s[4:5], s[0:1], 8
	s_load_b64 s[6:7], s[0:1], 0x40
	s_wait_kmcnt 0x0
	s_bitcmp1_b32 s11, 0
	s_cselect_b32 s3, s5, s3
	s_cselect_b32 s2, s4, s2
	flat_load_b128 v[6:9], v1, s[2:3]
	s_wait_xcnt 0x0
	s_add_nc_u64 s[2:3], s[0:1], 64
	s_delay_alu instid0(SALU_CYCLE_1)
	s_cselect_b32 s3, s3, s7
	s_cselect_b32 s2, s2, s6
	flat_load_b128 v[2:5], v1, s[2:3]
	s_wait_loadcnt_dscnt 0x101
	v_cmp_eq_f64_e32 vcc_lo, 0, v[6:7]
	s_wait_xcnt 0x0
	v_cmp_eq_f64_e64 s2, 0, v[8:9]
	s_and_b32 s4, vcc_lo, s2
	s_mov_b32 s2, -1
	s_and_saveexec_b32 s3, s4
	s_cbranch_execz .LBB123_2
; %bb.1:
	s_wait_loadcnt_dscnt 0x0
	v_cmp_neq_f64_e32 vcc_lo, 1.0, v[2:3]
	v_cmp_neq_f64_e64 s2, 0, v[4:5]
	s_or_b32 s2, vcc_lo, s2
	s_delay_alu instid0(SALU_CYCLE_1)
	s_or_not1_b32 s2, s2, exec_lo
.LBB123_2:
	s_or_b32 exec_lo, exec_lo, s3
	s_and_saveexec_b32 s3, s2
	s_cbranch_execz .LBB123_31
; %bb.3:
	s_clause 0x1
	s_load_b32 s4, s[0:1], 0x4
	s_load_b64 s[2:3], s[0:1], 0x18
	v_and_b32_e32 v14, 3, v0
	s_delay_alu instid0(VALU_DEP_1) | instskip(SKIP_3) | instid1(SALU_CYCLE_1)
	v_mov_b32_e32 v1, v14
	s_wait_kmcnt 0x0
	s_cmp_lg_u32 s4, 1
	s_cselect_b32 s11, -1, 0
	s_and_b32 vcc_lo, exec_lo, s11
	s_cbranch_vccnz .LBB123_5
; %bb.4:
	v_mul_u32_u24_e32 v1, 0x1112, v0
	s_delay_alu instid0(VALU_DEP_1)
	v_bfe_u32 v1, v1, 16, 2
.LBB123_5:
	s_bfe_u32 s4, ttmp6, 0x4000c
	s_and_b32 s5, ttmp6, 15
	s_add_co_i32 s4, s4, 1
	s_getreg_b32 s6, hwreg(HW_REG_IB_STS2, 6, 4)
	s_mul_i32 s4, ttmp9, s4
	v_mov_b64_e32 v[12:13], 0
	s_add_co_i32 s5, s5, s4
	s_cmp_eq_u32 s6, 0
	v_mov_b64_e32 v[10:11], 0
	s_cselect_b32 s8, ttmp9, s5
	s_delay_alu instid0(SALU_CYCLE_1) | instskip(NEXT) | instid1(SALU_CYCLE_1)
	s_ashr_i32 s9, s8, 31
	s_lshl_b64 s[4:5], s[8:9], 2
	s_delay_alu instid0(SALU_CYCLE_1)
	s_add_nc_u64 s[4:5], s[2:3], s[4:5]
	s_load_b64 s[14:15], s[4:5], 0x0
	s_load_b64 s[2:3], s[0:1], 0x50
	s_wait_kmcnt 0x0
	s_cmp_ge_i32 s14, s15
	s_cbranch_scc1 .LBB123_10
; %bb.6:
	s_clause 0x1
	s_load_b128 s[4:7], s[0:1], 0x20
	s_load_b64 s[12:13], s[0:1], 0x38
	v_mad_u32 v10, s14, 60, v0
	v_mov_b64_e32 v[12:13], 0
	v_mul_u32_u24_e32 v11, 0x445, v0
	s_wait_xcnt 0x0
	s_mul_i32 s0, s10, 60
	s_sub_co_i32 s1, s14, s10
	s_delay_alu instid0(VALU_DEP_1) | instskip(NEXT) | instid1(VALU_DEP_4)
	v_lshrrev_b32_e32 v15, 16, v11
	v_subrev_nc_u32_e32 v16, s0, v10
	v_mov_b64_e32 v[10:11], v[12:13]
	s_sub_co_i32 s0, s15, s10
	s_branch .LBB123_8
.LBB123_7:                              ;   in Loop: Header=BB123_8 Depth=1
	s_or_b32 exec_lo, exec_lo, s9
	v_add_nc_u32_e32 v16, 60, v16
	s_add_co_i32 s1, s1, 1
	s_delay_alu instid0(SALU_CYCLE_1)
	s_cmp_ge_i32 s1, s0
	s_cbranch_scc1 .LBB123_10
.LBB123_8:                              ; =>This Inner Loop Header: Depth=1
	v_add_nc_u32_e32 v17, s1, v15
	s_mov_b32 s9, exec_lo
	s_delay_alu instid0(VALU_DEP_1)
	v_cmpx_gt_i32_e64 s0, v17
	s_cbranch_execz .LBB123_7
; %bb.9:                                ;   in Loop: Header=BB123_8 Depth=1
	s_wait_kmcnt 0x0
	global_load_b32 v17, v17, s[4:5] scale_offset
	s_wait_loadcnt 0x0
	v_subrev_nc_u32_e32 v17, s10, v17
	s_delay_alu instid0(VALU_DEP_1)
	v_lshl_or_b32 v17, v17, 2, v1
	global_load_b128 v[18:21], v16, s[6:7] scale_offset
	global_load_b128 v[22:25], v17, s[12:13] scale_offset
	s_wait_loadcnt 0x0
	v_fmac_f64_e32 v[10:11], v[18:19], v[22:23]
	v_fmac_f64_e32 v[12:13], v[20:21], v[22:23]
	s_delay_alu instid0(VALU_DEP_2) | instskip(NEXT) | instid1(VALU_DEP_2)
	v_fma_f64 v[10:11], -v[20:21], v[24:25], v[10:11]
	v_fmac_f64_e32 v[12:13], v[18:19], v[24:25]
	s_branch .LBB123_7
.LBB123_10:
	v_lshlrev_b32_e32 v1, 4, v0
	s_and_b32 vcc_lo, exec_lo, s11
	ds_store_b128 v1, v[10:13]
	s_wait_loadcnt_dscnt 0x0
	s_barrier_signal -1
	s_barrier_wait -1
	s_cbranch_vccz .LBB123_18
; %bb.11:
	s_mov_b32 s0, exec_lo
	v_cmpx_gt_u32_e32 2, v14
	s_cbranch_execz .LBB123_13
; %bb.12:
	ds_load_b128 v[16:19], v1
	ds_load_b128 v[20:23], v1 offset:32
	s_wait_dscnt 0x0
	v_add_f64_e32 v[16:17], v[20:21], v[16:17]
	v_add_f64_e32 v[18:19], v[22:23], v[18:19]
	ds_store_b128 v1, v[16:19]
.LBB123_13:
	s_or_b32 exec_lo, exec_lo, s0
	s_delay_alu instid0(SALU_CYCLE_1)
	s_mov_b32 s0, exec_lo
	s_wait_dscnt 0x0
	s_barrier_signal -1
	s_barrier_wait -1
	v_cmpx_eq_u32_e32 0, v14
	s_cbranch_execz .LBB123_15
; %bb.14:
	ds_load_b128 v[14:17], v1
	ds_load_b128 v[18:21], v1 offset:16
	s_wait_dscnt 0x0
	v_add_f64_e32 v[14:15], v[18:19], v[14:15]
	v_add_f64_e32 v[16:17], v[20:21], v[16:17]
	ds_store_b128 v1, v[14:17]
.LBB123_15:
	s_or_b32 exec_lo, exec_lo, s0
	v_mov_b64_e32 v[16:17], v[12:13]
	v_mov_b64_e32 v[14:15], v[10:11]
	s_mov_b32 s0, exec_lo
	s_wait_dscnt 0x0
	s_barrier_signal -1
	s_barrier_wait -1
	v_cmpx_gt_u32_e32 15, v0
; %bb.16:
	v_mad_u32_u24 v14, v0, 48, v1
	ds_load_b128 v[14:17], v14
; %bb.17:
	s_or_b32 exec_lo, exec_lo, s0
	s_branch .LBB123_26
.LBB123_18:
                                        ; implicit-def: $vgpr16_vgpr17
	s_cbranch_execz .LBB123_26
; %bb.19:
	s_mov_b32 s0, exec_lo
	v_cmpx_gt_u32_e32 30, v0
	s_cbranch_execz .LBB123_21
; %bb.20:
	s_wait_dscnt 0x0
	ds_load_b128 v[14:17], v1 offset:480
	ds_load_b128 v[18:21], v1
	s_wait_dscnt 0x0
	v_add_f64_e32 v[14:15], v[14:15], v[18:19]
	v_add_f64_e32 v[16:17], v[16:17], v[20:21]
	ds_store_b128 v1, v[14:17]
.LBB123_21:
	s_or_b32 exec_lo, exec_lo, s0
	s_delay_alu instid0(SALU_CYCLE_1)
	s_mov_b32 s0, exec_lo
	s_wait_dscnt 0x0
	v_cmpx_lt_u32_e32 14, v0
	s_xor_b32 s0, exec_lo, s0
; %bb.22:
                                        ; implicit-def: $vgpr1
; %bb.23:
	s_delay_alu instid0(SALU_CYCLE_1)
	s_and_not1_saveexec_b32 s0, s0
	s_cbranch_execz .LBB123_25
; %bb.24:
	ds_load_b128 v[10:13], v1 offset:240
	ds_load_b128 v[14:17], v1
	s_wait_dscnt 0x0
	v_add_f64_e32 v[10:11], v[10:11], v[14:15]
	v_add_f64_e32 v[12:13], v[12:13], v[16:17]
	ds_store_b128 v1, v[10:13]
	s_wait_dscnt 0x0
	ds_load_b128 v[10:13], v1
.LBB123_25:
	s_or_b32 exec_lo, exec_lo, s0
	s_wait_dscnt 0x0
	v_mov_b64_e32 v[16:17], v[12:13]
	v_mov_b64_e32 v[14:15], v[10:11]
.LBB123_26:
	v_cmp_gt_u32_e32 vcc_lo, 15, v0
	s_and_b32 exec_lo, exec_lo, vcc_lo
	s_cbranch_execz .LBB123_31
; %bb.27:
	s_wait_dscnt 0x0
	s_delay_alu instid0(VALU_DEP_3)
	v_mul_f64_e64 v[10:11], v[16:17], -v[8:9]
	v_mul_f64_e32 v[12:13], v[6:7], v[16:17]
	v_cmp_eq_f64_e32 vcc_lo, 0, v[2:3]
	v_cmp_eq_f64_e64 s0, 0, v[4:5]
	v_mad_u32 v0, s8, 15, v0
	v_fmac_f64_e32 v[10:11], v[6:7], v[14:15]
	v_fmac_f64_e32 v[12:13], v[8:9], v[14:15]
	s_and_b32 s0, vcc_lo, s0
	s_delay_alu instid0(SALU_CYCLE_1) | instskip(NEXT) | instid1(SALU_CYCLE_1)
	s_and_saveexec_b32 s1, s0
	s_xor_b32 s0, exec_lo, s1
	s_cbranch_execz .LBB123_29
; %bb.28:
	global_store_b128 v0, v[10:13], s[2:3] scale_offset
                                        ; implicit-def: $vgpr0
                                        ; implicit-def: $vgpr2_vgpr3
                                        ; implicit-def: $vgpr10_vgpr11
.LBB123_29:
	s_wait_xcnt 0x0
	s_and_not1_saveexec_b32 s0, s0
	s_cbranch_execz .LBB123_31
; %bb.30:
	global_load_b128 v[6:9], v0, s[2:3] scale_offset
	s_wait_loadcnt 0x0
	v_fmac_f64_e32 v[10:11], v[2:3], v[6:7]
	v_fmac_f64_e32 v[12:13], v[4:5], v[6:7]
	s_delay_alu instid0(VALU_DEP_2) | instskip(NEXT) | instid1(VALU_DEP_2)
	v_fma_f64 v[10:11], -v[4:5], v[8:9], v[10:11]
	v_fmac_f64_e32 v[12:13], v[2:3], v[8:9]
	global_store_b128 v0, v[10:13], s[2:3] scale_offset
.LBB123_31:
	s_endpgm
	.section	.rodata,"a",@progbits
	.p2align	6, 0x0
	.amdhsa_kernel _ZN9rocsparseL22gebsrmvn_mxn_16_kernelILj60ELj15ELj4E21rocsparse_complex_numIdEEEvi20rocsparse_direction_NS_24const_host_device_scalarIT2_EEPKiS8_PKS5_iiSA_S6_PS5_21rocsparse_index_base_b
		.amdhsa_group_segment_fixed_size 960
		.amdhsa_private_segment_fixed_size 0
		.amdhsa_kernarg_size 96
		.amdhsa_user_sgpr_count 2
		.amdhsa_user_sgpr_dispatch_ptr 0
		.amdhsa_user_sgpr_queue_ptr 0
		.amdhsa_user_sgpr_kernarg_segment_ptr 1
		.amdhsa_user_sgpr_dispatch_id 0
		.amdhsa_user_sgpr_kernarg_preload_length 0
		.amdhsa_user_sgpr_kernarg_preload_offset 0
		.amdhsa_user_sgpr_private_segment_size 0
		.amdhsa_wavefront_size32 1
		.amdhsa_uses_dynamic_stack 0
		.amdhsa_enable_private_segment 0
		.amdhsa_system_sgpr_workgroup_id_x 1
		.amdhsa_system_sgpr_workgroup_id_y 0
		.amdhsa_system_sgpr_workgroup_id_z 0
		.amdhsa_system_sgpr_workgroup_info 0
		.amdhsa_system_vgpr_workitem_id 0
		.amdhsa_next_free_vgpr 26
		.amdhsa_next_free_sgpr 16
		.amdhsa_named_barrier_count 0
		.amdhsa_reserve_vcc 1
		.amdhsa_float_round_mode_32 0
		.amdhsa_float_round_mode_16_64 0
		.amdhsa_float_denorm_mode_32 3
		.amdhsa_float_denorm_mode_16_64 3
		.amdhsa_fp16_overflow 0
		.amdhsa_memory_ordered 1
		.amdhsa_forward_progress 1
		.amdhsa_inst_pref_size 9
		.amdhsa_round_robin_scheduling 0
		.amdhsa_exception_fp_ieee_invalid_op 0
		.amdhsa_exception_fp_denorm_src 0
		.amdhsa_exception_fp_ieee_div_zero 0
		.amdhsa_exception_fp_ieee_overflow 0
		.amdhsa_exception_fp_ieee_underflow 0
		.amdhsa_exception_fp_ieee_inexact 0
		.amdhsa_exception_int_div_zero 0
	.end_amdhsa_kernel
	.section	.text._ZN9rocsparseL22gebsrmvn_mxn_16_kernelILj60ELj15ELj4E21rocsparse_complex_numIdEEEvi20rocsparse_direction_NS_24const_host_device_scalarIT2_EEPKiS8_PKS5_iiSA_S6_PS5_21rocsparse_index_base_b,"axG",@progbits,_ZN9rocsparseL22gebsrmvn_mxn_16_kernelILj60ELj15ELj4E21rocsparse_complex_numIdEEEvi20rocsparse_direction_NS_24const_host_device_scalarIT2_EEPKiS8_PKS5_iiSA_S6_PS5_21rocsparse_index_base_b,comdat
.Lfunc_end123:
	.size	_ZN9rocsparseL22gebsrmvn_mxn_16_kernelILj60ELj15ELj4E21rocsparse_complex_numIdEEEvi20rocsparse_direction_NS_24const_host_device_scalarIT2_EEPKiS8_PKS5_iiSA_S6_PS5_21rocsparse_index_base_b, .Lfunc_end123-_ZN9rocsparseL22gebsrmvn_mxn_16_kernelILj60ELj15ELj4E21rocsparse_complex_numIdEEEvi20rocsparse_direction_NS_24const_host_device_scalarIT2_EEPKiS8_PKS5_iiSA_S6_PS5_21rocsparse_index_base_b
                                        ; -- End function
	.set _ZN9rocsparseL22gebsrmvn_mxn_16_kernelILj60ELj15ELj4E21rocsparse_complex_numIdEEEvi20rocsparse_direction_NS_24const_host_device_scalarIT2_EEPKiS8_PKS5_iiSA_S6_PS5_21rocsparse_index_base_b.num_vgpr, 26
	.set _ZN9rocsparseL22gebsrmvn_mxn_16_kernelILj60ELj15ELj4E21rocsparse_complex_numIdEEEvi20rocsparse_direction_NS_24const_host_device_scalarIT2_EEPKiS8_PKS5_iiSA_S6_PS5_21rocsparse_index_base_b.num_agpr, 0
	.set _ZN9rocsparseL22gebsrmvn_mxn_16_kernelILj60ELj15ELj4E21rocsparse_complex_numIdEEEvi20rocsparse_direction_NS_24const_host_device_scalarIT2_EEPKiS8_PKS5_iiSA_S6_PS5_21rocsparse_index_base_b.numbered_sgpr, 16
	.set _ZN9rocsparseL22gebsrmvn_mxn_16_kernelILj60ELj15ELj4E21rocsparse_complex_numIdEEEvi20rocsparse_direction_NS_24const_host_device_scalarIT2_EEPKiS8_PKS5_iiSA_S6_PS5_21rocsparse_index_base_b.num_named_barrier, 0
	.set _ZN9rocsparseL22gebsrmvn_mxn_16_kernelILj60ELj15ELj4E21rocsparse_complex_numIdEEEvi20rocsparse_direction_NS_24const_host_device_scalarIT2_EEPKiS8_PKS5_iiSA_S6_PS5_21rocsparse_index_base_b.private_seg_size, 0
	.set _ZN9rocsparseL22gebsrmvn_mxn_16_kernelILj60ELj15ELj4E21rocsparse_complex_numIdEEEvi20rocsparse_direction_NS_24const_host_device_scalarIT2_EEPKiS8_PKS5_iiSA_S6_PS5_21rocsparse_index_base_b.uses_vcc, 1
	.set _ZN9rocsparseL22gebsrmvn_mxn_16_kernelILj60ELj15ELj4E21rocsparse_complex_numIdEEEvi20rocsparse_direction_NS_24const_host_device_scalarIT2_EEPKiS8_PKS5_iiSA_S6_PS5_21rocsparse_index_base_b.uses_flat_scratch, 0
	.set _ZN9rocsparseL22gebsrmvn_mxn_16_kernelILj60ELj15ELj4E21rocsparse_complex_numIdEEEvi20rocsparse_direction_NS_24const_host_device_scalarIT2_EEPKiS8_PKS5_iiSA_S6_PS5_21rocsparse_index_base_b.has_dyn_sized_stack, 0
	.set _ZN9rocsparseL22gebsrmvn_mxn_16_kernelILj60ELj15ELj4E21rocsparse_complex_numIdEEEvi20rocsparse_direction_NS_24const_host_device_scalarIT2_EEPKiS8_PKS5_iiSA_S6_PS5_21rocsparse_index_base_b.has_recursion, 0
	.set _ZN9rocsparseL22gebsrmvn_mxn_16_kernelILj60ELj15ELj4E21rocsparse_complex_numIdEEEvi20rocsparse_direction_NS_24const_host_device_scalarIT2_EEPKiS8_PKS5_iiSA_S6_PS5_21rocsparse_index_base_b.has_indirect_call, 0
	.section	.AMDGPU.csdata,"",@progbits
; Kernel info:
; codeLenInByte = 1072
; TotalNumSgprs: 18
; NumVgprs: 26
; ScratchSize: 0
; MemoryBound: 0
; FloatMode: 240
; IeeeMode: 1
; LDSByteSize: 960 bytes/workgroup (compile time only)
; SGPRBlocks: 0
; VGPRBlocks: 1
; NumSGPRsForWavesPerEU: 18
; NumVGPRsForWavesPerEU: 26
; NamedBarCnt: 0
; Occupancy: 16
; WaveLimiterHint : 1
; COMPUTE_PGM_RSRC2:SCRATCH_EN: 0
; COMPUTE_PGM_RSRC2:USER_SGPR: 2
; COMPUTE_PGM_RSRC2:TRAP_HANDLER: 0
; COMPUTE_PGM_RSRC2:TGID_X_EN: 1
; COMPUTE_PGM_RSRC2:TGID_Y_EN: 0
; COMPUTE_PGM_RSRC2:TGID_Z_EN: 0
; COMPUTE_PGM_RSRC2:TIDIG_COMP_CNT: 0
	.section	.text._ZN9rocsparseL22gebsrmvn_mxn_16_kernelILj75ELj15ELj5E21rocsparse_complex_numIdEEEvi20rocsparse_direction_NS_24const_host_device_scalarIT2_EEPKiS8_PKS5_iiSA_S6_PS5_21rocsparse_index_base_b,"axG",@progbits,_ZN9rocsparseL22gebsrmvn_mxn_16_kernelILj75ELj15ELj5E21rocsparse_complex_numIdEEEvi20rocsparse_direction_NS_24const_host_device_scalarIT2_EEPKiS8_PKS5_iiSA_S6_PS5_21rocsparse_index_base_b,comdat
	.globl	_ZN9rocsparseL22gebsrmvn_mxn_16_kernelILj75ELj15ELj5E21rocsparse_complex_numIdEEEvi20rocsparse_direction_NS_24const_host_device_scalarIT2_EEPKiS8_PKS5_iiSA_S6_PS5_21rocsparse_index_base_b ; -- Begin function _ZN9rocsparseL22gebsrmvn_mxn_16_kernelILj75ELj15ELj5E21rocsparse_complex_numIdEEEvi20rocsparse_direction_NS_24const_host_device_scalarIT2_EEPKiS8_PKS5_iiSA_S6_PS5_21rocsparse_index_base_b
	.p2align	8
	.type	_ZN9rocsparseL22gebsrmvn_mxn_16_kernelILj75ELj15ELj5E21rocsparse_complex_numIdEEEvi20rocsparse_direction_NS_24const_host_device_scalarIT2_EEPKiS8_PKS5_iiSA_S6_PS5_21rocsparse_index_base_b,@function
_ZN9rocsparseL22gebsrmvn_mxn_16_kernelILj75ELj15ELj5E21rocsparse_complex_numIdEEEvi20rocsparse_direction_NS_24const_host_device_scalarIT2_EEPKiS8_PKS5_iiSA_S6_PS5_21rocsparse_index_base_b: ; @_ZN9rocsparseL22gebsrmvn_mxn_16_kernelILj75ELj15ELj5E21rocsparse_complex_numIdEEEvi20rocsparse_direction_NS_24const_host_device_scalarIT2_EEPKiS8_PKS5_iiSA_S6_PS5_21rocsparse_index_base_b
; %bb.0:
	s_clause 0x1
	s_load_b64 s[10:11], s[0:1], 0x58
	s_load_b64 s[2:3], s[0:1], 0x8
	v_mov_b32_e32 v1, 0
	s_add_nc_u64 s[4:5], s[0:1], 8
	s_load_b64 s[6:7], s[0:1], 0x40
	s_wait_kmcnt 0x0
	s_bitcmp1_b32 s11, 0
	s_cselect_b32 s3, s5, s3
	s_cselect_b32 s2, s4, s2
	flat_load_b128 v[6:9], v1, s[2:3]
	s_wait_xcnt 0x0
	s_add_nc_u64 s[2:3], s[0:1], 64
	s_delay_alu instid0(SALU_CYCLE_1)
	s_cselect_b32 s3, s3, s7
	s_cselect_b32 s2, s2, s6
	flat_load_b128 v[2:5], v1, s[2:3]
	s_wait_loadcnt_dscnt 0x101
	v_cmp_eq_f64_e32 vcc_lo, 0, v[6:7]
	s_wait_xcnt 0x0
	v_cmp_eq_f64_e64 s2, 0, v[8:9]
	s_and_b32 s4, vcc_lo, s2
	s_mov_b32 s2, -1
	s_and_saveexec_b32 s3, s4
	s_cbranch_execz .LBB124_2
; %bb.1:
	s_wait_loadcnt_dscnt 0x0
	v_cmp_neq_f64_e32 vcc_lo, 1.0, v[2:3]
	v_cmp_neq_f64_e64 s2, 0, v[4:5]
	s_or_b32 s2, vcc_lo, s2
	s_delay_alu instid0(SALU_CYCLE_1)
	s_or_not1_b32 s2, s2, exec_lo
.LBB124_2:
	s_or_b32 exec_lo, exec_lo, s3
	s_and_saveexec_b32 s3, s2
	s_cbranch_execz .LBB124_35
; %bb.3:
	v_mul_u32_u24_e32 v1, 0x3334, v0
	s_clause 0x1
	s_load_b32 s4, s[0:1], 0x4
	s_load_b64 s[2:3], s[0:1], 0x18
	v_and_b32_e32 v15, 0xffff, v0
	v_lshrrev_b32_e32 v1, 16, v1
	s_delay_alu instid0(VALU_DEP_1) | instskip(NEXT) | instid1(VALU_DEP_1)
	v_mul_lo_u16 v1, v1, 5
	v_sub_nc_u16 v1, v0, v1
	s_delay_alu instid0(VALU_DEP_1) | instskip(SKIP_3) | instid1(SALU_CYCLE_1)
	v_and_b32_e32 v14, 0xffff, v1
	s_wait_kmcnt 0x0
	s_cmp_lg_u32 s4, 1
	s_cselect_b32 s11, -1, 0
	s_and_b32 vcc_lo, exec_lo, s11
	v_mov_b32_e32 v1, v14
	s_cbranch_vccnz .LBB124_5
; %bb.4:
	v_mul_u32_u24_e32 v1, 0x1112, v15
	s_delay_alu instid0(VALU_DEP_1) | instskip(NEXT) | instid1(VALU_DEP_1)
	v_lshrrev_b32_e32 v1, 16, v1
	v_mul_lo_u16 v10, v1, 52
	s_delay_alu instid0(VALU_DEP_1) | instskip(NEXT) | instid1(VALU_DEP_1)
	v_lshrrev_b16 v10, 8, v10
	v_mul_lo_u16 v10, v10, 5
	s_delay_alu instid0(VALU_DEP_1) | instskip(NEXT) | instid1(VALU_DEP_1)
	v_sub_nc_u16 v1, v1, v10
	v_and_b32_e32 v1, 0xff, v1
.LBB124_5:
	s_bfe_u32 s4, ttmp6, 0x4000c
	s_and_b32 s5, ttmp6, 15
	s_add_co_i32 s4, s4, 1
	s_getreg_b32 s6, hwreg(HW_REG_IB_STS2, 6, 4)
	s_mul_i32 s4, ttmp9, s4
	v_mov_b64_e32 v[12:13], 0
	s_add_co_i32 s5, s5, s4
	s_cmp_eq_u32 s6, 0
	v_mov_b64_e32 v[10:11], 0
	s_cselect_b32 s8, ttmp9, s5
	s_delay_alu instid0(SALU_CYCLE_1) | instskip(NEXT) | instid1(SALU_CYCLE_1)
	s_ashr_i32 s9, s8, 31
	s_lshl_b64 s[4:5], s[8:9], 2
	s_delay_alu instid0(SALU_CYCLE_1)
	s_add_nc_u64 s[4:5], s[2:3], s[4:5]
	s_load_b64 s[14:15], s[4:5], 0x0
	s_load_b64 s[2:3], s[0:1], 0x50
	s_wait_kmcnt 0x0
	s_cmp_ge_i32 s14, s15
	s_cbranch_scc1 .LBB124_10
; %bb.6:
	s_clause 0x1
	s_load_b128 s[4:7], s[0:1], 0x20
	s_load_b64 s[12:13], s[0:1], 0x38
	v_mad_u32 v10, 0x4b, s14, v0
	v_mov_b64_e32 v[12:13], 0
	v_mul_u32_u24_e32 v11, 0x36a, v15
	s_wait_xcnt 0x0
	s_mul_i32 s0, s10, 0x4b
	s_sub_co_i32 s1, s14, s10
	s_delay_alu instid0(VALU_DEP_1) | instskip(NEXT) | instid1(VALU_DEP_4)
	v_lshrrev_b32_e32 v15, 16, v11
	v_subrev_nc_u32_e32 v16, s0, v10
	v_mov_b64_e32 v[10:11], v[12:13]
	s_sub_co_i32 s0, s15, s10
	s_branch .LBB124_8
.LBB124_7:                              ;   in Loop: Header=BB124_8 Depth=1
	s_or_b32 exec_lo, exec_lo, s9
	v_add_nc_u32_e32 v16, 0x4b, v16
	s_add_co_i32 s1, s1, 1
	s_delay_alu instid0(SALU_CYCLE_1)
	s_cmp_ge_i32 s1, s0
	s_cbranch_scc1 .LBB124_10
.LBB124_8:                              ; =>This Inner Loop Header: Depth=1
	v_add_nc_u32_e32 v17, s1, v15
	s_mov_b32 s9, exec_lo
	s_delay_alu instid0(VALU_DEP_1)
	v_cmpx_gt_i32_e64 s0, v17
	s_cbranch_execz .LBB124_7
; %bb.9:                                ;   in Loop: Header=BB124_8 Depth=1
	s_wait_kmcnt 0x0
	global_load_b32 v17, v17, s[4:5] scale_offset
	s_wait_loadcnt 0x0
	v_subrev_nc_u32_e32 v17, s10, v17
	s_delay_alu instid0(VALU_DEP_1)
	v_mad_u32 v17, v17, 5, v1
	global_load_b128 v[18:21], v16, s[6:7] scale_offset
	global_load_b128 v[22:25], v17, s[12:13] scale_offset
	s_wait_loadcnt 0x0
	v_fmac_f64_e32 v[10:11], v[18:19], v[22:23]
	v_fmac_f64_e32 v[12:13], v[20:21], v[22:23]
	s_delay_alu instid0(VALU_DEP_2) | instskip(NEXT) | instid1(VALU_DEP_2)
	v_fma_f64 v[10:11], -v[20:21], v[24:25], v[10:11]
	v_fmac_f64_e32 v[12:13], v[18:19], v[24:25]
	s_branch .LBB124_7
.LBB124_10:
	v_lshlrev_b32_e32 v1, 4, v0
	s_and_b32 vcc_lo, exec_lo, s11
	ds_store_b128 v1, v[10:13]
	s_wait_loadcnt_dscnt 0x0
	s_barrier_signal -1
	s_barrier_wait -1
	s_cbranch_vccz .LBB124_20
; %bb.11:
	v_cmp_eq_u16_e32 vcc_lo, 0, v14
	s_and_saveexec_b32 s0, vcc_lo
	s_cbranch_execz .LBB124_13
; %bb.12:
	ds_load_b128 v[16:19], v1 offset:64
	ds_load_b128 v[20:23], v1
	s_wait_dscnt 0x0
	v_add_f64_e32 v[16:17], v[16:17], v[20:21]
	v_add_f64_e32 v[18:19], v[18:19], v[22:23]
	ds_store_b128 v1, v[16:19]
.LBB124_13:
	s_or_b32 exec_lo, exec_lo, s0
	s_delay_alu instid0(SALU_CYCLE_1)
	s_mov_b32 s1, exec_lo
	s_wait_dscnt 0x0
	s_barrier_signal -1
	s_barrier_wait -1
	v_cmpx_gt_u16_e32 2, v14
	s_cbranch_execz .LBB124_15
; %bb.14:
	ds_load_b128 v[14:17], v1
	ds_load_b128 v[18:21], v1 offset:32
	s_wait_dscnt 0x0
	v_add_f64_e32 v[14:15], v[18:19], v[14:15]
	v_add_f64_e32 v[16:17], v[20:21], v[16:17]
	ds_store_b128 v1, v[14:17]
.LBB124_15:
	s_or_b32 exec_lo, exec_lo, s1
	s_wait_dscnt 0x0
	s_barrier_signal -1
	s_barrier_wait -1
	s_and_saveexec_b32 s0, vcc_lo
	s_cbranch_execz .LBB124_17
; %bb.16:
	ds_load_b128 v[14:17], v1
	ds_load_b128 v[18:21], v1 offset:16
	s_wait_dscnt 0x0
	v_add_f64_e32 v[14:15], v[18:19], v[14:15]
	v_add_f64_e32 v[16:17], v[20:21], v[16:17]
	ds_store_b128 v1, v[14:17]
.LBB124_17:
	s_or_b32 exec_lo, exec_lo, s0
	v_mov_b64_e32 v[16:17], v[12:13]
	v_mov_b64_e32 v[14:15], v[10:11]
	s_mov_b32 s0, exec_lo
	s_wait_dscnt 0x0
	s_barrier_signal -1
	s_barrier_wait -1
	v_cmpx_gt_u32_e32 15, v0
; %bb.18:
	v_lshl_add_u32 v14, v0, 6, v1
	ds_load_b128 v[14:17], v14
; %bb.19:
	s_or_b32 exec_lo, exec_lo, s0
	v_cmp_gt_u32_e64 s0, 15, v0
	s_branch .LBB124_30
.LBB124_20:
                                        ; implicit-def: $vgpr16_vgpr17
	v_cmp_gt_u32_e64 s0, 15, v0
	s_cbranch_execz .LBB124_30
; %bb.21:
	v_cmp_lt_u32_e32 vcc_lo, 14, v0
	s_and_saveexec_b32 s1, s0
	s_cbranch_execz .LBB124_23
; %bb.22:
	s_wait_dscnt 0x0
	ds_load_b128 v[14:17], v1 offset:960
	ds_load_b128 v[18:21], v1
	s_wait_dscnt 0x0
	v_add_f64_e32 v[14:15], v[14:15], v[18:19]
	v_add_f64_e32 v[16:17], v[16:17], v[20:21]
	ds_store_b128 v1, v[14:17]
.LBB124_23:
	s_or_b32 exec_lo, exec_lo, s1
	s_delay_alu instid0(SALU_CYCLE_1)
	s_mov_b32 s1, exec_lo
	s_wait_dscnt 0x0
	s_barrier_signal -1
	s_barrier_wait -1
	v_cmpx_gt_u32_e32 30, v0
	s_cbranch_execz .LBB124_25
; %bb.24:
	ds_load_b128 v[14:17], v1 offset:480
	ds_load_b128 v[18:21], v1
	s_wait_dscnt 0x0
	v_add_f64_e32 v[14:15], v[14:15], v[18:19]
	v_add_f64_e32 v[16:17], v[16:17], v[20:21]
	ds_store_b128 v1, v[14:17]
.LBB124_25:
	s_or_b32 exec_lo, exec_lo, s1
	s_wait_dscnt 0x0
	s_and_saveexec_b32 s0, vcc_lo
	s_delay_alu instid0(SALU_CYCLE_1)
	s_xor_b32 s0, exec_lo, s0
; %bb.26:
                                        ; implicit-def: $vgpr1
; %bb.27:
	s_delay_alu instid0(SALU_CYCLE_1)
	s_and_not1_saveexec_b32 s0, s0
	s_cbranch_execz .LBB124_29
; %bb.28:
	ds_load_b128 v[10:13], v1 offset:240
	ds_load_b128 v[14:17], v1
	s_wait_dscnt 0x0
	v_add_f64_e32 v[10:11], v[10:11], v[14:15]
	v_add_f64_e32 v[12:13], v[12:13], v[16:17]
	ds_store_b128 v1, v[10:13]
	s_wait_dscnt 0x0
	ds_load_b128 v[10:13], v1
.LBB124_29:
	s_or_b32 exec_lo, exec_lo, s0
	s_wait_dscnt 0x0
	v_mov_b64_e32 v[16:17], v[12:13]
	v_mov_b64_e32 v[14:15], v[10:11]
.LBB124_30:
	v_cmp_gt_u32_e32 vcc_lo, 15, v0
	s_and_b32 exec_lo, exec_lo, vcc_lo
	s_cbranch_execz .LBB124_35
; %bb.31:
	s_wait_dscnt 0x0
	s_delay_alu instid0(VALU_DEP_3)
	v_mul_f64_e64 v[10:11], v[16:17], -v[8:9]
	v_mul_f64_e32 v[12:13], v[6:7], v[16:17]
	v_cmp_eq_f64_e32 vcc_lo, 0, v[2:3]
	v_cmp_eq_f64_e64 s0, 0, v[4:5]
	v_mad_u32 v0, s8, 15, v0
	v_fmac_f64_e32 v[10:11], v[6:7], v[14:15]
	v_fmac_f64_e32 v[12:13], v[8:9], v[14:15]
	s_and_b32 s0, vcc_lo, s0
	s_delay_alu instid0(SALU_CYCLE_1) | instskip(NEXT) | instid1(SALU_CYCLE_1)
	s_and_saveexec_b32 s1, s0
	s_xor_b32 s0, exec_lo, s1
	s_cbranch_execz .LBB124_33
; %bb.32:
	global_store_b128 v0, v[10:13], s[2:3] scale_offset
                                        ; implicit-def: $vgpr0
                                        ; implicit-def: $vgpr2_vgpr3
                                        ; implicit-def: $vgpr10_vgpr11
.LBB124_33:
	s_wait_xcnt 0x0
	s_and_not1_saveexec_b32 s0, s0
	s_cbranch_execz .LBB124_35
; %bb.34:
	global_load_b128 v[6:9], v0, s[2:3] scale_offset
	s_wait_loadcnt 0x0
	v_fmac_f64_e32 v[10:11], v[2:3], v[6:7]
	v_fmac_f64_e32 v[12:13], v[4:5], v[6:7]
	s_delay_alu instid0(VALU_DEP_2) | instskip(NEXT) | instid1(VALU_DEP_2)
	v_fma_f64 v[10:11], -v[4:5], v[8:9], v[10:11]
	v_fmac_f64_e32 v[12:13], v[2:3], v[8:9]
	global_store_b128 v0, v[10:13], s[2:3] scale_offset
.LBB124_35:
	s_endpgm
	.section	.rodata,"a",@progbits
	.p2align	6, 0x0
	.amdhsa_kernel _ZN9rocsparseL22gebsrmvn_mxn_16_kernelILj75ELj15ELj5E21rocsparse_complex_numIdEEEvi20rocsparse_direction_NS_24const_host_device_scalarIT2_EEPKiS8_PKS5_iiSA_S6_PS5_21rocsparse_index_base_b
		.amdhsa_group_segment_fixed_size 1200
		.amdhsa_private_segment_fixed_size 0
		.amdhsa_kernarg_size 96
		.amdhsa_user_sgpr_count 2
		.amdhsa_user_sgpr_dispatch_ptr 0
		.amdhsa_user_sgpr_queue_ptr 0
		.amdhsa_user_sgpr_kernarg_segment_ptr 1
		.amdhsa_user_sgpr_dispatch_id 0
		.amdhsa_user_sgpr_kernarg_preload_length 0
		.amdhsa_user_sgpr_kernarg_preload_offset 0
		.amdhsa_user_sgpr_private_segment_size 0
		.amdhsa_wavefront_size32 1
		.amdhsa_uses_dynamic_stack 0
		.amdhsa_enable_private_segment 0
		.amdhsa_system_sgpr_workgroup_id_x 1
		.amdhsa_system_sgpr_workgroup_id_y 0
		.amdhsa_system_sgpr_workgroup_id_z 0
		.amdhsa_system_sgpr_workgroup_info 0
		.amdhsa_system_vgpr_workitem_id 0
		.amdhsa_next_free_vgpr 26
		.amdhsa_next_free_sgpr 16
		.amdhsa_named_barrier_count 0
		.amdhsa_reserve_vcc 1
		.amdhsa_float_round_mode_32 0
		.amdhsa_float_round_mode_16_64 0
		.amdhsa_float_denorm_mode_32 3
		.amdhsa_float_denorm_mode_16_64 3
		.amdhsa_fp16_overflow 0
		.amdhsa_memory_ordered 1
		.amdhsa_forward_progress 1
		.amdhsa_inst_pref_size 11
		.amdhsa_round_robin_scheduling 0
		.amdhsa_exception_fp_ieee_invalid_op 0
		.amdhsa_exception_fp_denorm_src 0
		.amdhsa_exception_fp_ieee_div_zero 0
		.amdhsa_exception_fp_ieee_overflow 0
		.amdhsa_exception_fp_ieee_underflow 0
		.amdhsa_exception_fp_ieee_inexact 0
		.amdhsa_exception_int_div_zero 0
	.end_amdhsa_kernel
	.section	.text._ZN9rocsparseL22gebsrmvn_mxn_16_kernelILj75ELj15ELj5E21rocsparse_complex_numIdEEEvi20rocsparse_direction_NS_24const_host_device_scalarIT2_EEPKiS8_PKS5_iiSA_S6_PS5_21rocsparse_index_base_b,"axG",@progbits,_ZN9rocsparseL22gebsrmvn_mxn_16_kernelILj75ELj15ELj5E21rocsparse_complex_numIdEEEvi20rocsparse_direction_NS_24const_host_device_scalarIT2_EEPKiS8_PKS5_iiSA_S6_PS5_21rocsparse_index_base_b,comdat
.Lfunc_end124:
	.size	_ZN9rocsparseL22gebsrmvn_mxn_16_kernelILj75ELj15ELj5E21rocsparse_complex_numIdEEEvi20rocsparse_direction_NS_24const_host_device_scalarIT2_EEPKiS8_PKS5_iiSA_S6_PS5_21rocsparse_index_base_b, .Lfunc_end124-_ZN9rocsparseL22gebsrmvn_mxn_16_kernelILj75ELj15ELj5E21rocsparse_complex_numIdEEEvi20rocsparse_direction_NS_24const_host_device_scalarIT2_EEPKiS8_PKS5_iiSA_S6_PS5_21rocsparse_index_base_b
                                        ; -- End function
	.set _ZN9rocsparseL22gebsrmvn_mxn_16_kernelILj75ELj15ELj5E21rocsparse_complex_numIdEEEvi20rocsparse_direction_NS_24const_host_device_scalarIT2_EEPKiS8_PKS5_iiSA_S6_PS5_21rocsparse_index_base_b.num_vgpr, 26
	.set _ZN9rocsparseL22gebsrmvn_mxn_16_kernelILj75ELj15ELj5E21rocsparse_complex_numIdEEEvi20rocsparse_direction_NS_24const_host_device_scalarIT2_EEPKiS8_PKS5_iiSA_S6_PS5_21rocsparse_index_base_b.num_agpr, 0
	.set _ZN9rocsparseL22gebsrmvn_mxn_16_kernelILj75ELj15ELj5E21rocsparse_complex_numIdEEEvi20rocsparse_direction_NS_24const_host_device_scalarIT2_EEPKiS8_PKS5_iiSA_S6_PS5_21rocsparse_index_base_b.numbered_sgpr, 16
	.set _ZN9rocsparseL22gebsrmvn_mxn_16_kernelILj75ELj15ELj5E21rocsparse_complex_numIdEEEvi20rocsparse_direction_NS_24const_host_device_scalarIT2_EEPKiS8_PKS5_iiSA_S6_PS5_21rocsparse_index_base_b.num_named_barrier, 0
	.set _ZN9rocsparseL22gebsrmvn_mxn_16_kernelILj75ELj15ELj5E21rocsparse_complex_numIdEEEvi20rocsparse_direction_NS_24const_host_device_scalarIT2_EEPKiS8_PKS5_iiSA_S6_PS5_21rocsparse_index_base_b.private_seg_size, 0
	.set _ZN9rocsparseL22gebsrmvn_mxn_16_kernelILj75ELj15ELj5E21rocsparse_complex_numIdEEEvi20rocsparse_direction_NS_24const_host_device_scalarIT2_EEPKiS8_PKS5_iiSA_S6_PS5_21rocsparse_index_base_b.uses_vcc, 1
	.set _ZN9rocsparseL22gebsrmvn_mxn_16_kernelILj75ELj15ELj5E21rocsparse_complex_numIdEEEvi20rocsparse_direction_NS_24const_host_device_scalarIT2_EEPKiS8_PKS5_iiSA_S6_PS5_21rocsparse_index_base_b.uses_flat_scratch, 0
	.set _ZN9rocsparseL22gebsrmvn_mxn_16_kernelILj75ELj15ELj5E21rocsparse_complex_numIdEEEvi20rocsparse_direction_NS_24const_host_device_scalarIT2_EEPKiS8_PKS5_iiSA_S6_PS5_21rocsparse_index_base_b.has_dyn_sized_stack, 0
	.set _ZN9rocsparseL22gebsrmvn_mxn_16_kernelILj75ELj15ELj5E21rocsparse_complex_numIdEEEvi20rocsparse_direction_NS_24const_host_device_scalarIT2_EEPKiS8_PKS5_iiSA_S6_PS5_21rocsparse_index_base_b.has_recursion, 0
	.set _ZN9rocsparseL22gebsrmvn_mxn_16_kernelILj75ELj15ELj5E21rocsparse_complex_numIdEEEvi20rocsparse_direction_NS_24const_host_device_scalarIT2_EEPKiS8_PKS5_iiSA_S6_PS5_21rocsparse_index_base_b.has_indirect_call, 0
	.section	.AMDGPU.csdata,"",@progbits
; Kernel info:
; codeLenInByte = 1312
; TotalNumSgprs: 18
; NumVgprs: 26
; ScratchSize: 0
; MemoryBound: 0
; FloatMode: 240
; IeeeMode: 1
; LDSByteSize: 1200 bytes/workgroup (compile time only)
; SGPRBlocks: 0
; VGPRBlocks: 1
; NumSGPRsForWavesPerEU: 18
; NumVGPRsForWavesPerEU: 26
; NamedBarCnt: 0
; Occupancy: 16
; WaveLimiterHint : 1
; COMPUTE_PGM_RSRC2:SCRATCH_EN: 0
; COMPUTE_PGM_RSRC2:USER_SGPR: 2
; COMPUTE_PGM_RSRC2:TRAP_HANDLER: 0
; COMPUTE_PGM_RSRC2:TGID_X_EN: 1
; COMPUTE_PGM_RSRC2:TGID_Y_EN: 0
; COMPUTE_PGM_RSRC2:TGID_Z_EN: 0
; COMPUTE_PGM_RSRC2:TIDIG_COMP_CNT: 0
	.section	.text._ZN9rocsparseL22gebsrmvn_mxn_16_kernelILj90ELj15ELj6E21rocsparse_complex_numIdEEEvi20rocsparse_direction_NS_24const_host_device_scalarIT2_EEPKiS8_PKS5_iiSA_S6_PS5_21rocsparse_index_base_b,"axG",@progbits,_ZN9rocsparseL22gebsrmvn_mxn_16_kernelILj90ELj15ELj6E21rocsparse_complex_numIdEEEvi20rocsparse_direction_NS_24const_host_device_scalarIT2_EEPKiS8_PKS5_iiSA_S6_PS5_21rocsparse_index_base_b,comdat
	.globl	_ZN9rocsparseL22gebsrmvn_mxn_16_kernelILj90ELj15ELj6E21rocsparse_complex_numIdEEEvi20rocsparse_direction_NS_24const_host_device_scalarIT2_EEPKiS8_PKS5_iiSA_S6_PS5_21rocsparse_index_base_b ; -- Begin function _ZN9rocsparseL22gebsrmvn_mxn_16_kernelILj90ELj15ELj6E21rocsparse_complex_numIdEEEvi20rocsparse_direction_NS_24const_host_device_scalarIT2_EEPKiS8_PKS5_iiSA_S6_PS5_21rocsparse_index_base_b
	.p2align	8
	.type	_ZN9rocsparseL22gebsrmvn_mxn_16_kernelILj90ELj15ELj6E21rocsparse_complex_numIdEEEvi20rocsparse_direction_NS_24const_host_device_scalarIT2_EEPKiS8_PKS5_iiSA_S6_PS5_21rocsparse_index_base_b,@function
_ZN9rocsparseL22gebsrmvn_mxn_16_kernelILj90ELj15ELj6E21rocsparse_complex_numIdEEEvi20rocsparse_direction_NS_24const_host_device_scalarIT2_EEPKiS8_PKS5_iiSA_S6_PS5_21rocsparse_index_base_b: ; @_ZN9rocsparseL22gebsrmvn_mxn_16_kernelILj90ELj15ELj6E21rocsparse_complex_numIdEEEvi20rocsparse_direction_NS_24const_host_device_scalarIT2_EEPKiS8_PKS5_iiSA_S6_PS5_21rocsparse_index_base_b
; %bb.0:
	s_clause 0x1
	s_load_b64 s[10:11], s[0:1], 0x58
	s_load_b64 s[2:3], s[0:1], 0x8
	v_mov_b32_e32 v1, 0
	s_add_nc_u64 s[4:5], s[0:1], 8
	s_load_b64 s[6:7], s[0:1], 0x40
	s_wait_kmcnt 0x0
	s_bitcmp1_b32 s11, 0
	s_cselect_b32 s3, s5, s3
	s_cselect_b32 s2, s4, s2
	flat_load_b128 v[6:9], v1, s[2:3]
	s_wait_xcnt 0x0
	s_add_nc_u64 s[2:3], s[0:1], 64
	s_delay_alu instid0(SALU_CYCLE_1)
	s_cselect_b32 s3, s3, s7
	s_cselect_b32 s2, s2, s6
	flat_load_b128 v[2:5], v1, s[2:3]
	s_wait_loadcnt_dscnt 0x101
	v_cmp_eq_f64_e32 vcc_lo, 0, v[6:7]
	s_wait_xcnt 0x0
	v_cmp_eq_f64_e64 s2, 0, v[8:9]
	s_and_b32 s4, vcc_lo, s2
	s_mov_b32 s2, -1
	s_and_saveexec_b32 s3, s4
	s_cbranch_execz .LBB125_2
; %bb.1:
	s_wait_loadcnt_dscnt 0x0
	v_cmp_neq_f64_e32 vcc_lo, 1.0, v[2:3]
	v_cmp_neq_f64_e64 s2, 0, v[4:5]
	s_or_b32 s2, vcc_lo, s2
	s_delay_alu instid0(SALU_CYCLE_1)
	s_or_not1_b32 s2, s2, exec_lo
.LBB125_2:
	s_or_b32 exec_lo, exec_lo, s3
	s_and_saveexec_b32 s3, s2
	s_cbranch_execz .LBB125_35
; %bb.3:
	v_mul_u32_u24_e32 v1, 0x2aab, v0
	s_clause 0x1
	s_load_b32 s4, s[0:1], 0x4
	s_load_b64 s[2:3], s[0:1], 0x18
	v_and_b32_e32 v15, 0xffff, v0
	v_lshrrev_b32_e32 v1, 16, v1
	s_delay_alu instid0(VALU_DEP_1) | instskip(NEXT) | instid1(VALU_DEP_1)
	v_mul_lo_u16 v1, v1, 6
	v_sub_nc_u16 v1, v0, v1
	s_delay_alu instid0(VALU_DEP_1) | instskip(SKIP_3) | instid1(SALU_CYCLE_1)
	v_and_b32_e32 v14, 0xffff, v1
	s_wait_kmcnt 0x0
	s_cmp_lg_u32 s4, 1
	s_cselect_b32 s11, -1, 0
	s_and_b32 vcc_lo, exec_lo, s11
	v_mov_b32_e32 v1, v14
	s_cbranch_vccnz .LBB125_5
; %bb.4:
	v_mul_u32_u24_e32 v1, 0x1112, v15
	s_delay_alu instid0(VALU_DEP_1) | instskip(NEXT) | instid1(VALU_DEP_1)
	v_lshrrev_b32_e32 v1, 16, v1
	v_mul_lo_u16 v10, v1, 43
	s_delay_alu instid0(VALU_DEP_1) | instskip(NEXT) | instid1(VALU_DEP_1)
	v_lshrrev_b16 v10, 8, v10
	v_mul_lo_u16 v10, v10, 6
	s_delay_alu instid0(VALU_DEP_1) | instskip(NEXT) | instid1(VALU_DEP_1)
	v_sub_nc_u16 v1, v1, v10
	v_and_b32_e32 v1, 0xff, v1
.LBB125_5:
	s_bfe_u32 s4, ttmp6, 0x4000c
	s_and_b32 s5, ttmp6, 15
	s_add_co_i32 s4, s4, 1
	s_getreg_b32 s6, hwreg(HW_REG_IB_STS2, 6, 4)
	s_mul_i32 s4, ttmp9, s4
	v_mov_b64_e32 v[12:13], 0
	s_add_co_i32 s5, s5, s4
	s_cmp_eq_u32 s6, 0
	v_mov_b64_e32 v[10:11], 0
	s_cselect_b32 s8, ttmp9, s5
	s_delay_alu instid0(SALU_CYCLE_1) | instskip(NEXT) | instid1(SALU_CYCLE_1)
	s_ashr_i32 s9, s8, 31
	s_lshl_b64 s[4:5], s[8:9], 2
	s_delay_alu instid0(SALU_CYCLE_1)
	s_add_nc_u64 s[4:5], s[2:3], s[4:5]
	s_load_b64 s[14:15], s[4:5], 0x0
	s_load_b64 s[2:3], s[0:1], 0x50
	s_wait_kmcnt 0x0
	s_cmp_ge_i32 s14, s15
	s_cbranch_scc1 .LBB125_10
; %bb.6:
	s_clause 0x1
	s_load_b128 s[4:7], s[0:1], 0x20
	s_load_b64 s[12:13], s[0:1], 0x38
	v_mad_u32 v10, 0x5a, s14, v0
	v_mov_b64_e32 v[12:13], 0
	v_mul_u32_u24_e32 v11, 0x2d9, v15
	s_wait_xcnt 0x0
	s_mul_i32 s0, s10, 0x5a
	s_sub_co_i32 s1, s14, s10
	s_delay_alu instid0(VALU_DEP_1) | instskip(NEXT) | instid1(VALU_DEP_4)
	v_lshrrev_b32_e32 v15, 16, v11
	v_subrev_nc_u32_e32 v16, s0, v10
	v_mov_b64_e32 v[10:11], v[12:13]
	s_sub_co_i32 s0, s15, s10
	s_branch .LBB125_8
.LBB125_7:                              ;   in Loop: Header=BB125_8 Depth=1
	s_or_b32 exec_lo, exec_lo, s9
	v_add_nc_u32_e32 v16, 0x5a, v16
	s_add_co_i32 s1, s1, 1
	s_delay_alu instid0(SALU_CYCLE_1)
	s_cmp_ge_i32 s1, s0
	s_cbranch_scc1 .LBB125_10
.LBB125_8:                              ; =>This Inner Loop Header: Depth=1
	v_add_nc_u32_e32 v17, s1, v15
	s_mov_b32 s9, exec_lo
	s_delay_alu instid0(VALU_DEP_1)
	v_cmpx_gt_i32_e64 s0, v17
	s_cbranch_execz .LBB125_7
; %bb.9:                                ;   in Loop: Header=BB125_8 Depth=1
	s_wait_kmcnt 0x0
	global_load_b32 v17, v17, s[4:5] scale_offset
	s_wait_loadcnt 0x0
	v_subrev_nc_u32_e32 v17, s10, v17
	s_delay_alu instid0(VALU_DEP_1)
	v_mad_u32 v17, v17, 6, v1
	global_load_b128 v[18:21], v16, s[6:7] scale_offset
	global_load_b128 v[22:25], v17, s[12:13] scale_offset
	s_wait_loadcnt 0x0
	v_fmac_f64_e32 v[10:11], v[18:19], v[22:23]
	v_fmac_f64_e32 v[12:13], v[20:21], v[22:23]
	s_delay_alu instid0(VALU_DEP_2) | instskip(NEXT) | instid1(VALU_DEP_2)
	v_fma_f64 v[10:11], -v[20:21], v[24:25], v[10:11]
	v_fmac_f64_e32 v[12:13], v[18:19], v[24:25]
	s_branch .LBB125_7
.LBB125_10:
	v_lshlrev_b32_e32 v1, 4, v0
	s_and_b32 vcc_lo, exec_lo, s11
	ds_store_b128 v1, v[10:13]
	s_wait_loadcnt_dscnt 0x0
	s_barrier_signal -1
	s_barrier_wait -1
	s_cbranch_vccz .LBB125_20
; %bb.11:
	v_cmp_gt_u16_e32 vcc_lo, 2, v14
	s_and_saveexec_b32 s0, vcc_lo
	s_cbranch_execz .LBB125_13
; %bb.12:
	ds_load_b128 v[16:19], v1 offset:64
	ds_load_b128 v[20:23], v1
	s_wait_dscnt 0x0
	v_add_f64_e32 v[16:17], v[16:17], v[20:21]
	v_add_f64_e32 v[18:19], v[18:19], v[22:23]
	ds_store_b128 v1, v[16:19]
.LBB125_13:
	s_or_b32 exec_lo, exec_lo, s0
	s_wait_dscnt 0x0
	s_barrier_signal -1
	s_barrier_wait -1
	s_and_saveexec_b32 s0, vcc_lo
	s_cbranch_execz .LBB125_15
; %bb.14:
	ds_load_b128 v[16:19], v1
	ds_load_b128 v[20:23], v1 offset:32
	s_wait_dscnt 0x0
	v_add_f64_e32 v[16:17], v[20:21], v[16:17]
	v_add_f64_e32 v[18:19], v[22:23], v[18:19]
	ds_store_b128 v1, v[16:19]
.LBB125_15:
	s_or_b32 exec_lo, exec_lo, s0
	s_delay_alu instid0(SALU_CYCLE_1)
	s_mov_b32 s0, exec_lo
	s_wait_dscnt 0x0
	s_barrier_signal -1
	s_barrier_wait -1
	v_cmpx_eq_u16_e32 0, v14
	s_cbranch_execz .LBB125_17
; %bb.16:
	ds_load_b128 v[14:17], v1
	ds_load_b128 v[18:21], v1 offset:16
	s_wait_dscnt 0x0
	v_add_f64_e32 v[14:15], v[18:19], v[14:15]
	v_add_f64_e32 v[16:17], v[20:21], v[16:17]
	ds_store_b128 v1, v[14:17]
.LBB125_17:
	s_or_b32 exec_lo, exec_lo, s0
	v_mov_b64_e32 v[16:17], v[12:13]
	v_mov_b64_e32 v[14:15], v[10:11]
	s_mov_b32 s0, exec_lo
	s_wait_dscnt 0x0
	s_barrier_signal -1
	s_barrier_wait -1
	v_cmpx_gt_u32_e32 15, v0
; %bb.18:
	v_mad_u32_u24 v14, 0x50, v0, v1
	ds_load_b128 v[14:17], v14
; %bb.19:
	s_or_b32 exec_lo, exec_lo, s0
	s_branch .LBB125_30
.LBB125_20:
                                        ; implicit-def: $vgpr16_vgpr17
	s_cbranch_execz .LBB125_30
; %bb.21:
	v_cmp_gt_u32_e32 vcc_lo, 30, v0
	s_and_saveexec_b32 s0, vcc_lo
	s_cbranch_execz .LBB125_23
; %bb.22:
	s_wait_dscnt 0x0
	ds_load_b128 v[14:17], v1 offset:960
	ds_load_b128 v[18:21], v1
	s_wait_dscnt 0x0
	v_add_f64_e32 v[14:15], v[14:15], v[18:19]
	v_add_f64_e32 v[16:17], v[16:17], v[20:21]
	ds_store_b128 v1, v[14:17]
.LBB125_23:
	s_or_b32 exec_lo, exec_lo, s0
	s_wait_dscnt 0x0
	s_barrier_signal -1
	s_barrier_wait -1
	s_and_saveexec_b32 s0, vcc_lo
	s_cbranch_execz .LBB125_25
; %bb.24:
	ds_load_b128 v[14:17], v1 offset:480
	ds_load_b128 v[18:21], v1
	s_wait_dscnt 0x0
	v_add_f64_e32 v[14:15], v[14:15], v[18:19]
	v_add_f64_e32 v[16:17], v[16:17], v[20:21]
	ds_store_b128 v1, v[14:17]
.LBB125_25:
	s_or_b32 exec_lo, exec_lo, s0
	s_delay_alu instid0(SALU_CYCLE_1)
	s_mov_b32 s0, exec_lo
	s_wait_dscnt 0x0
	v_cmpx_lt_u32_e32 14, v0
	s_xor_b32 s0, exec_lo, s0
; %bb.26:
                                        ; implicit-def: $vgpr1
; %bb.27:
	s_delay_alu instid0(SALU_CYCLE_1)
	s_and_not1_saveexec_b32 s0, s0
	s_cbranch_execz .LBB125_29
; %bb.28:
	ds_load_b128 v[10:13], v1 offset:240
	ds_load_b128 v[14:17], v1
	s_wait_dscnt 0x0
	v_add_f64_e32 v[10:11], v[10:11], v[14:15]
	v_add_f64_e32 v[12:13], v[12:13], v[16:17]
	ds_store_b128 v1, v[10:13]
	s_wait_dscnt 0x0
	ds_load_b128 v[10:13], v1
.LBB125_29:
	s_or_b32 exec_lo, exec_lo, s0
	s_wait_dscnt 0x0
	v_mov_b64_e32 v[16:17], v[12:13]
	v_mov_b64_e32 v[14:15], v[10:11]
.LBB125_30:
	v_cmp_gt_u32_e32 vcc_lo, 15, v0
	s_and_b32 exec_lo, exec_lo, vcc_lo
	s_cbranch_execz .LBB125_35
; %bb.31:
	s_wait_dscnt 0x0
	s_delay_alu instid0(VALU_DEP_3)
	v_mul_f64_e64 v[10:11], v[16:17], -v[8:9]
	v_mul_f64_e32 v[12:13], v[6:7], v[16:17]
	v_cmp_eq_f64_e32 vcc_lo, 0, v[2:3]
	v_cmp_eq_f64_e64 s0, 0, v[4:5]
	v_mad_u32 v0, s8, 15, v0
	v_fmac_f64_e32 v[10:11], v[6:7], v[14:15]
	v_fmac_f64_e32 v[12:13], v[8:9], v[14:15]
	s_and_b32 s0, vcc_lo, s0
	s_delay_alu instid0(SALU_CYCLE_1) | instskip(NEXT) | instid1(SALU_CYCLE_1)
	s_and_saveexec_b32 s1, s0
	s_xor_b32 s0, exec_lo, s1
	s_cbranch_execz .LBB125_33
; %bb.32:
	global_store_b128 v0, v[10:13], s[2:3] scale_offset
                                        ; implicit-def: $vgpr0
                                        ; implicit-def: $vgpr2_vgpr3
                                        ; implicit-def: $vgpr10_vgpr11
.LBB125_33:
	s_wait_xcnt 0x0
	s_and_not1_saveexec_b32 s0, s0
	s_cbranch_execz .LBB125_35
; %bb.34:
	global_load_b128 v[6:9], v0, s[2:3] scale_offset
	s_wait_loadcnt 0x0
	v_fmac_f64_e32 v[10:11], v[2:3], v[6:7]
	v_fmac_f64_e32 v[12:13], v[4:5], v[6:7]
	s_delay_alu instid0(VALU_DEP_2) | instskip(NEXT) | instid1(VALU_DEP_2)
	v_fma_f64 v[10:11], -v[4:5], v[8:9], v[10:11]
	v_fmac_f64_e32 v[12:13], v[2:3], v[8:9]
	global_store_b128 v0, v[10:13], s[2:3] scale_offset
.LBB125_35:
	s_endpgm
	.section	.rodata,"a",@progbits
	.p2align	6, 0x0
	.amdhsa_kernel _ZN9rocsparseL22gebsrmvn_mxn_16_kernelILj90ELj15ELj6E21rocsparse_complex_numIdEEEvi20rocsparse_direction_NS_24const_host_device_scalarIT2_EEPKiS8_PKS5_iiSA_S6_PS5_21rocsparse_index_base_b
		.amdhsa_group_segment_fixed_size 1440
		.amdhsa_private_segment_fixed_size 0
		.amdhsa_kernarg_size 96
		.amdhsa_user_sgpr_count 2
		.amdhsa_user_sgpr_dispatch_ptr 0
		.amdhsa_user_sgpr_queue_ptr 0
		.amdhsa_user_sgpr_kernarg_segment_ptr 1
		.amdhsa_user_sgpr_dispatch_id 0
		.amdhsa_user_sgpr_kernarg_preload_length 0
		.amdhsa_user_sgpr_kernarg_preload_offset 0
		.amdhsa_user_sgpr_private_segment_size 0
		.amdhsa_wavefront_size32 1
		.amdhsa_uses_dynamic_stack 0
		.amdhsa_enable_private_segment 0
		.amdhsa_system_sgpr_workgroup_id_x 1
		.amdhsa_system_sgpr_workgroup_id_y 0
		.amdhsa_system_sgpr_workgroup_id_z 0
		.amdhsa_system_sgpr_workgroup_info 0
		.amdhsa_system_vgpr_workitem_id 0
		.amdhsa_next_free_vgpr 26
		.amdhsa_next_free_sgpr 16
		.amdhsa_named_barrier_count 0
		.amdhsa_reserve_vcc 1
		.amdhsa_float_round_mode_32 0
		.amdhsa_float_round_mode_16_64 0
		.amdhsa_float_denorm_mode_32 3
		.amdhsa_float_denorm_mode_16_64 3
		.amdhsa_fp16_overflow 0
		.amdhsa_memory_ordered 1
		.amdhsa_forward_progress 1
		.amdhsa_inst_pref_size 11
		.amdhsa_round_robin_scheduling 0
		.amdhsa_exception_fp_ieee_invalid_op 0
		.amdhsa_exception_fp_denorm_src 0
		.amdhsa_exception_fp_ieee_div_zero 0
		.amdhsa_exception_fp_ieee_overflow 0
		.amdhsa_exception_fp_ieee_underflow 0
		.amdhsa_exception_fp_ieee_inexact 0
		.amdhsa_exception_int_div_zero 0
	.end_amdhsa_kernel
	.section	.text._ZN9rocsparseL22gebsrmvn_mxn_16_kernelILj90ELj15ELj6E21rocsparse_complex_numIdEEEvi20rocsparse_direction_NS_24const_host_device_scalarIT2_EEPKiS8_PKS5_iiSA_S6_PS5_21rocsparse_index_base_b,"axG",@progbits,_ZN9rocsparseL22gebsrmvn_mxn_16_kernelILj90ELj15ELj6E21rocsparse_complex_numIdEEEvi20rocsparse_direction_NS_24const_host_device_scalarIT2_EEPKiS8_PKS5_iiSA_S6_PS5_21rocsparse_index_base_b,comdat
.Lfunc_end125:
	.size	_ZN9rocsparseL22gebsrmvn_mxn_16_kernelILj90ELj15ELj6E21rocsparse_complex_numIdEEEvi20rocsparse_direction_NS_24const_host_device_scalarIT2_EEPKiS8_PKS5_iiSA_S6_PS5_21rocsparse_index_base_b, .Lfunc_end125-_ZN9rocsparseL22gebsrmvn_mxn_16_kernelILj90ELj15ELj6E21rocsparse_complex_numIdEEEvi20rocsparse_direction_NS_24const_host_device_scalarIT2_EEPKiS8_PKS5_iiSA_S6_PS5_21rocsparse_index_base_b
                                        ; -- End function
	.set _ZN9rocsparseL22gebsrmvn_mxn_16_kernelILj90ELj15ELj6E21rocsparse_complex_numIdEEEvi20rocsparse_direction_NS_24const_host_device_scalarIT2_EEPKiS8_PKS5_iiSA_S6_PS5_21rocsparse_index_base_b.num_vgpr, 26
	.set _ZN9rocsparseL22gebsrmvn_mxn_16_kernelILj90ELj15ELj6E21rocsparse_complex_numIdEEEvi20rocsparse_direction_NS_24const_host_device_scalarIT2_EEPKiS8_PKS5_iiSA_S6_PS5_21rocsparse_index_base_b.num_agpr, 0
	.set _ZN9rocsparseL22gebsrmvn_mxn_16_kernelILj90ELj15ELj6E21rocsparse_complex_numIdEEEvi20rocsparse_direction_NS_24const_host_device_scalarIT2_EEPKiS8_PKS5_iiSA_S6_PS5_21rocsparse_index_base_b.numbered_sgpr, 16
	.set _ZN9rocsparseL22gebsrmvn_mxn_16_kernelILj90ELj15ELj6E21rocsparse_complex_numIdEEEvi20rocsparse_direction_NS_24const_host_device_scalarIT2_EEPKiS8_PKS5_iiSA_S6_PS5_21rocsparse_index_base_b.num_named_barrier, 0
	.set _ZN9rocsparseL22gebsrmvn_mxn_16_kernelILj90ELj15ELj6E21rocsparse_complex_numIdEEEvi20rocsparse_direction_NS_24const_host_device_scalarIT2_EEPKiS8_PKS5_iiSA_S6_PS5_21rocsparse_index_base_b.private_seg_size, 0
	.set _ZN9rocsparseL22gebsrmvn_mxn_16_kernelILj90ELj15ELj6E21rocsparse_complex_numIdEEEvi20rocsparse_direction_NS_24const_host_device_scalarIT2_EEPKiS8_PKS5_iiSA_S6_PS5_21rocsparse_index_base_b.uses_vcc, 1
	.set _ZN9rocsparseL22gebsrmvn_mxn_16_kernelILj90ELj15ELj6E21rocsparse_complex_numIdEEEvi20rocsparse_direction_NS_24const_host_device_scalarIT2_EEPKiS8_PKS5_iiSA_S6_PS5_21rocsparse_index_base_b.uses_flat_scratch, 0
	.set _ZN9rocsparseL22gebsrmvn_mxn_16_kernelILj90ELj15ELj6E21rocsparse_complex_numIdEEEvi20rocsparse_direction_NS_24const_host_device_scalarIT2_EEPKiS8_PKS5_iiSA_S6_PS5_21rocsparse_index_base_b.has_dyn_sized_stack, 0
	.set _ZN9rocsparseL22gebsrmvn_mxn_16_kernelILj90ELj15ELj6E21rocsparse_complex_numIdEEEvi20rocsparse_direction_NS_24const_host_device_scalarIT2_EEPKiS8_PKS5_iiSA_S6_PS5_21rocsparse_index_base_b.has_recursion, 0
	.set _ZN9rocsparseL22gebsrmvn_mxn_16_kernelILj90ELj15ELj6E21rocsparse_complex_numIdEEEvi20rocsparse_direction_NS_24const_host_device_scalarIT2_EEPKiS8_PKS5_iiSA_S6_PS5_21rocsparse_index_base_b.has_indirect_call, 0
	.section	.AMDGPU.csdata,"",@progbits
; Kernel info:
; codeLenInByte = 1296
; TotalNumSgprs: 18
; NumVgprs: 26
; ScratchSize: 0
; MemoryBound: 0
; FloatMode: 240
; IeeeMode: 1
; LDSByteSize: 1440 bytes/workgroup (compile time only)
; SGPRBlocks: 0
; VGPRBlocks: 1
; NumSGPRsForWavesPerEU: 18
; NumVGPRsForWavesPerEU: 26
; NamedBarCnt: 0
; Occupancy: 16
; WaveLimiterHint : 1
; COMPUTE_PGM_RSRC2:SCRATCH_EN: 0
; COMPUTE_PGM_RSRC2:USER_SGPR: 2
; COMPUTE_PGM_RSRC2:TRAP_HANDLER: 0
; COMPUTE_PGM_RSRC2:TGID_X_EN: 1
; COMPUTE_PGM_RSRC2:TGID_Y_EN: 0
; COMPUTE_PGM_RSRC2:TGID_Z_EN: 0
; COMPUTE_PGM_RSRC2:TIDIG_COMP_CNT: 0
	.section	.text._ZN9rocsparseL22gebsrmvn_mxn_16_kernelILj105ELj15ELj7E21rocsparse_complex_numIdEEEvi20rocsparse_direction_NS_24const_host_device_scalarIT2_EEPKiS8_PKS5_iiSA_S6_PS5_21rocsparse_index_base_b,"axG",@progbits,_ZN9rocsparseL22gebsrmvn_mxn_16_kernelILj105ELj15ELj7E21rocsparse_complex_numIdEEEvi20rocsparse_direction_NS_24const_host_device_scalarIT2_EEPKiS8_PKS5_iiSA_S6_PS5_21rocsparse_index_base_b,comdat
	.globl	_ZN9rocsparseL22gebsrmvn_mxn_16_kernelILj105ELj15ELj7E21rocsparse_complex_numIdEEEvi20rocsparse_direction_NS_24const_host_device_scalarIT2_EEPKiS8_PKS5_iiSA_S6_PS5_21rocsparse_index_base_b ; -- Begin function _ZN9rocsparseL22gebsrmvn_mxn_16_kernelILj105ELj15ELj7E21rocsparse_complex_numIdEEEvi20rocsparse_direction_NS_24const_host_device_scalarIT2_EEPKiS8_PKS5_iiSA_S6_PS5_21rocsparse_index_base_b
	.p2align	8
	.type	_ZN9rocsparseL22gebsrmvn_mxn_16_kernelILj105ELj15ELj7E21rocsparse_complex_numIdEEEvi20rocsparse_direction_NS_24const_host_device_scalarIT2_EEPKiS8_PKS5_iiSA_S6_PS5_21rocsparse_index_base_b,@function
_ZN9rocsparseL22gebsrmvn_mxn_16_kernelILj105ELj15ELj7E21rocsparse_complex_numIdEEEvi20rocsparse_direction_NS_24const_host_device_scalarIT2_EEPKiS8_PKS5_iiSA_S6_PS5_21rocsparse_index_base_b: ; @_ZN9rocsparseL22gebsrmvn_mxn_16_kernelILj105ELj15ELj7E21rocsparse_complex_numIdEEEvi20rocsparse_direction_NS_24const_host_device_scalarIT2_EEPKiS8_PKS5_iiSA_S6_PS5_21rocsparse_index_base_b
; %bb.0:
	s_clause 0x1
	s_load_b64 s[10:11], s[0:1], 0x58
	s_load_b64 s[2:3], s[0:1], 0x8
	v_mov_b32_e32 v1, 0
	s_add_nc_u64 s[4:5], s[0:1], 8
	s_load_b64 s[6:7], s[0:1], 0x40
	s_wait_kmcnt 0x0
	s_bitcmp1_b32 s11, 0
	s_cselect_b32 s3, s5, s3
	s_cselect_b32 s2, s4, s2
	flat_load_b128 v[6:9], v1, s[2:3]
	s_wait_xcnt 0x0
	s_add_nc_u64 s[2:3], s[0:1], 64
	s_delay_alu instid0(SALU_CYCLE_1)
	s_cselect_b32 s3, s3, s7
	s_cselect_b32 s2, s2, s6
	flat_load_b128 v[2:5], v1, s[2:3]
	s_wait_loadcnt_dscnt 0x101
	v_cmp_eq_f64_e32 vcc_lo, 0, v[6:7]
	s_wait_xcnt 0x0
	v_cmp_eq_f64_e64 s2, 0, v[8:9]
	s_and_b32 s4, vcc_lo, s2
	s_mov_b32 s2, -1
	s_and_saveexec_b32 s3, s4
	s_cbranch_execz .LBB126_2
; %bb.1:
	s_wait_loadcnt_dscnt 0x0
	v_cmp_neq_f64_e32 vcc_lo, 1.0, v[2:3]
	v_cmp_neq_f64_e64 s2, 0, v[4:5]
	s_or_b32 s2, vcc_lo, s2
	s_delay_alu instid0(SALU_CYCLE_1)
	s_or_not1_b32 s2, s2, exec_lo
.LBB126_2:
	s_or_b32 exec_lo, exec_lo, s3
	s_and_saveexec_b32 s3, s2
	s_cbranch_execz .LBB126_35
; %bb.3:
	v_mul_u32_u24_e32 v1, 0x2493, v0
	s_clause 0x1
	s_load_b32 s4, s[0:1], 0x4
	s_load_b64 s[2:3], s[0:1], 0x18
	v_and_b32_e32 v15, 0xffff, v0
	v_lshrrev_b32_e32 v1, 16, v1
	s_delay_alu instid0(VALU_DEP_1) | instskip(NEXT) | instid1(VALU_DEP_1)
	v_mul_lo_u16 v1, v1, 7
	v_sub_nc_u16 v1, v0, v1
	s_delay_alu instid0(VALU_DEP_1) | instskip(SKIP_3) | instid1(SALU_CYCLE_1)
	v_and_b32_e32 v14, 0xffff, v1
	s_wait_kmcnt 0x0
	s_cmp_lg_u32 s4, 1
	s_cselect_b32 s11, -1, 0
	s_and_b32 vcc_lo, exec_lo, s11
	v_mov_b32_e32 v1, v14
	s_cbranch_vccnz .LBB126_5
; %bb.4:
	v_mul_u32_u24_e32 v1, 0x1112, v15
	s_delay_alu instid0(VALU_DEP_1) | instskip(NEXT) | instid1(VALU_DEP_1)
	v_lshrrev_b32_e32 v1, 16, v1
	v_mul_lo_u16 v10, v1, 37
	s_delay_alu instid0(VALU_DEP_1) | instskip(NEXT) | instid1(VALU_DEP_1)
	v_lshrrev_b16 v10, 8, v10
	v_mul_lo_u16 v10, v10, 7
	s_delay_alu instid0(VALU_DEP_1) | instskip(NEXT) | instid1(VALU_DEP_1)
	v_sub_nc_u16 v1, v1, v10
	v_and_b32_e32 v1, 0xff, v1
.LBB126_5:
	s_bfe_u32 s4, ttmp6, 0x4000c
	s_and_b32 s5, ttmp6, 15
	s_add_co_i32 s4, s4, 1
	s_getreg_b32 s6, hwreg(HW_REG_IB_STS2, 6, 4)
	s_mul_i32 s4, ttmp9, s4
	v_mov_b64_e32 v[12:13], 0
	s_add_co_i32 s5, s5, s4
	s_cmp_eq_u32 s6, 0
	v_mov_b64_e32 v[10:11], 0
	s_cselect_b32 s8, ttmp9, s5
	s_delay_alu instid0(SALU_CYCLE_1) | instskip(NEXT) | instid1(SALU_CYCLE_1)
	s_ashr_i32 s9, s8, 31
	s_lshl_b64 s[4:5], s[8:9], 2
	s_delay_alu instid0(SALU_CYCLE_1)
	s_add_nc_u64 s[4:5], s[2:3], s[4:5]
	s_load_b64 s[14:15], s[4:5], 0x0
	s_load_b64 s[2:3], s[0:1], 0x50
	s_wait_kmcnt 0x0
	s_cmp_ge_i32 s14, s15
	s_cbranch_scc1 .LBB126_10
; %bb.6:
	s_clause 0x1
	s_load_b128 s[4:7], s[0:1], 0x20
	s_load_b64 s[12:13], s[0:1], 0x38
	v_mad_u32 v10, 0x69, s14, v0
	v_mov_b64_e32 v[12:13], 0
	v_mul_u32_u24_e32 v11, 0x271, v15
	s_wait_xcnt 0x0
	s_mul_i32 s0, s10, 0x69
	s_sub_co_i32 s1, s14, s10
	s_delay_alu instid0(VALU_DEP_1) | instskip(NEXT) | instid1(VALU_DEP_4)
	v_lshrrev_b32_e32 v15, 16, v11
	v_subrev_nc_u32_e32 v16, s0, v10
	v_mov_b64_e32 v[10:11], v[12:13]
	s_sub_co_i32 s0, s15, s10
	s_branch .LBB126_8
.LBB126_7:                              ;   in Loop: Header=BB126_8 Depth=1
	s_or_b32 exec_lo, exec_lo, s9
	v_add_nc_u32_e32 v16, 0x69, v16
	s_add_co_i32 s1, s1, 1
	s_delay_alu instid0(SALU_CYCLE_1)
	s_cmp_ge_i32 s1, s0
	s_cbranch_scc1 .LBB126_10
.LBB126_8:                              ; =>This Inner Loop Header: Depth=1
	v_add_nc_u32_e32 v17, s1, v15
	s_mov_b32 s9, exec_lo
	s_delay_alu instid0(VALU_DEP_1)
	v_cmpx_gt_i32_e64 s0, v17
	s_cbranch_execz .LBB126_7
; %bb.9:                                ;   in Loop: Header=BB126_8 Depth=1
	s_wait_kmcnt 0x0
	global_load_b32 v17, v17, s[4:5] scale_offset
	s_wait_loadcnt 0x0
	v_subrev_nc_u32_e32 v17, s10, v17
	s_delay_alu instid0(VALU_DEP_1)
	v_mad_u32 v17, v17, 7, v1
	global_load_b128 v[18:21], v16, s[6:7] scale_offset
	global_load_b128 v[22:25], v17, s[12:13] scale_offset
	s_wait_loadcnt 0x0
	v_fmac_f64_e32 v[10:11], v[18:19], v[22:23]
	v_fmac_f64_e32 v[12:13], v[20:21], v[22:23]
	s_delay_alu instid0(VALU_DEP_2) | instskip(NEXT) | instid1(VALU_DEP_2)
	v_fma_f64 v[10:11], -v[20:21], v[24:25], v[10:11]
	v_fmac_f64_e32 v[12:13], v[18:19], v[24:25]
	s_branch .LBB126_7
.LBB126_10:
	v_lshlrev_b32_e32 v1, 4, v0
	s_and_b32 vcc_lo, exec_lo, s11
	ds_store_b128 v1, v[10:13]
	s_wait_loadcnt_dscnt 0x0
	s_barrier_signal -1
	s_barrier_wait -1
	s_cbranch_vccz .LBB126_20
; %bb.11:
	s_mov_b32 s0, exec_lo
	v_cmpx_gt_u16_e32 3, v14
	s_cbranch_execz .LBB126_13
; %bb.12:
	ds_load_b128 v[16:19], v1 offset:64
	ds_load_b128 v[20:23], v1
	s_wait_dscnt 0x0
	v_add_f64_e32 v[16:17], v[16:17], v[20:21]
	v_add_f64_e32 v[18:19], v[18:19], v[22:23]
	ds_store_b128 v1, v[16:19]
.LBB126_13:
	s_or_b32 exec_lo, exec_lo, s0
	s_delay_alu instid0(SALU_CYCLE_1)
	s_mov_b32 s0, exec_lo
	s_wait_dscnt 0x0
	s_barrier_signal -1
	s_barrier_wait -1
	v_cmpx_gt_u16_e32 2, v14
	s_cbranch_execz .LBB126_15
; %bb.14:
	ds_load_b128 v[16:19], v1
	ds_load_b128 v[20:23], v1 offset:32
	s_wait_dscnt 0x0
	v_add_f64_e32 v[16:17], v[20:21], v[16:17]
	v_add_f64_e32 v[18:19], v[22:23], v[18:19]
	ds_store_b128 v1, v[16:19]
.LBB126_15:
	s_or_b32 exec_lo, exec_lo, s0
	s_delay_alu instid0(SALU_CYCLE_1)
	s_mov_b32 s0, exec_lo
	s_wait_dscnt 0x0
	s_barrier_signal -1
	s_barrier_wait -1
	v_cmpx_eq_u16_e32 0, v14
	s_cbranch_execz .LBB126_17
; %bb.16:
	ds_load_b128 v[14:17], v1
	ds_load_b128 v[18:21], v1 offset:16
	s_wait_dscnt 0x0
	v_add_f64_e32 v[14:15], v[18:19], v[14:15]
	v_add_f64_e32 v[16:17], v[20:21], v[16:17]
	ds_store_b128 v1, v[14:17]
.LBB126_17:
	s_or_b32 exec_lo, exec_lo, s0
	v_mov_b64_e32 v[16:17], v[12:13]
	v_mov_b64_e32 v[14:15], v[10:11]
	s_mov_b32 s0, exec_lo
	s_wait_dscnt 0x0
	s_barrier_signal -1
	s_barrier_wait -1
	v_cmpx_gt_u32_e32 15, v0
; %bb.18:
	v_mad_u32_u24 v14, 0x60, v0, v1
	ds_load_b128 v[14:17], v14
; %bb.19:
	s_or_b32 exec_lo, exec_lo, s0
	s_branch .LBB126_30
.LBB126_20:
                                        ; implicit-def: $vgpr16_vgpr17
	s_cbranch_execz .LBB126_30
; %bb.21:
	s_mov_b32 s0, exec_lo
	v_cmpx_gt_u32_e32 45, v0
	s_cbranch_execz .LBB126_23
; %bb.22:
	s_wait_dscnt 0x0
	ds_load_b128 v[14:17], v1 offset:960
	ds_load_b128 v[18:21], v1
	s_wait_dscnt 0x0
	v_add_f64_e32 v[14:15], v[14:15], v[18:19]
	v_add_f64_e32 v[16:17], v[16:17], v[20:21]
	ds_store_b128 v1, v[14:17]
.LBB126_23:
	s_or_b32 exec_lo, exec_lo, s0
	s_delay_alu instid0(SALU_CYCLE_1)
	s_mov_b32 s0, exec_lo
	s_wait_dscnt 0x0
	s_barrier_signal -1
	s_barrier_wait -1
	v_cmpx_gt_u32_e32 30, v0
	s_cbranch_execz .LBB126_25
; %bb.24:
	ds_load_b128 v[14:17], v1 offset:480
	ds_load_b128 v[18:21], v1
	s_wait_dscnt 0x0
	v_add_f64_e32 v[14:15], v[14:15], v[18:19]
	v_add_f64_e32 v[16:17], v[16:17], v[20:21]
	ds_store_b128 v1, v[14:17]
.LBB126_25:
	s_or_b32 exec_lo, exec_lo, s0
	s_delay_alu instid0(SALU_CYCLE_1)
	s_mov_b32 s0, exec_lo
	s_wait_dscnt 0x0
	v_cmpx_lt_u32_e32 14, v0
	s_xor_b32 s0, exec_lo, s0
; %bb.26:
                                        ; implicit-def: $vgpr1
; %bb.27:
	s_delay_alu instid0(SALU_CYCLE_1)
	s_and_not1_saveexec_b32 s0, s0
	s_cbranch_execz .LBB126_29
; %bb.28:
	ds_load_b128 v[10:13], v1 offset:240
	ds_load_b128 v[14:17], v1
	s_wait_dscnt 0x0
	v_add_f64_e32 v[10:11], v[10:11], v[14:15]
	v_add_f64_e32 v[12:13], v[12:13], v[16:17]
	ds_store_b128 v1, v[10:13]
	s_wait_dscnt 0x0
	ds_load_b128 v[10:13], v1
.LBB126_29:
	s_or_b32 exec_lo, exec_lo, s0
	s_wait_dscnt 0x0
	v_mov_b64_e32 v[16:17], v[12:13]
	v_mov_b64_e32 v[14:15], v[10:11]
.LBB126_30:
	v_cmp_gt_u32_e32 vcc_lo, 15, v0
	s_and_b32 exec_lo, exec_lo, vcc_lo
	s_cbranch_execz .LBB126_35
; %bb.31:
	s_wait_dscnt 0x0
	s_delay_alu instid0(VALU_DEP_3)
	v_mul_f64_e64 v[10:11], v[16:17], -v[8:9]
	v_mul_f64_e32 v[12:13], v[6:7], v[16:17]
	v_cmp_eq_f64_e32 vcc_lo, 0, v[2:3]
	v_cmp_eq_f64_e64 s0, 0, v[4:5]
	v_mad_u32 v0, s8, 15, v0
	v_fmac_f64_e32 v[10:11], v[6:7], v[14:15]
	v_fmac_f64_e32 v[12:13], v[8:9], v[14:15]
	s_and_b32 s0, vcc_lo, s0
	s_delay_alu instid0(SALU_CYCLE_1) | instskip(NEXT) | instid1(SALU_CYCLE_1)
	s_and_saveexec_b32 s1, s0
	s_xor_b32 s0, exec_lo, s1
	s_cbranch_execz .LBB126_33
; %bb.32:
	global_store_b128 v0, v[10:13], s[2:3] scale_offset
                                        ; implicit-def: $vgpr0
                                        ; implicit-def: $vgpr2_vgpr3
                                        ; implicit-def: $vgpr10_vgpr11
.LBB126_33:
	s_wait_xcnt 0x0
	s_and_not1_saveexec_b32 s0, s0
	s_cbranch_execz .LBB126_35
; %bb.34:
	global_load_b128 v[6:9], v0, s[2:3] scale_offset
	s_wait_loadcnt 0x0
	v_fmac_f64_e32 v[10:11], v[2:3], v[6:7]
	v_fmac_f64_e32 v[12:13], v[4:5], v[6:7]
	s_delay_alu instid0(VALU_DEP_2) | instskip(NEXT) | instid1(VALU_DEP_2)
	v_fma_f64 v[10:11], -v[4:5], v[8:9], v[10:11]
	v_fmac_f64_e32 v[12:13], v[2:3], v[8:9]
	global_store_b128 v0, v[10:13], s[2:3] scale_offset
.LBB126_35:
	s_endpgm
	.section	.rodata,"a",@progbits
	.p2align	6, 0x0
	.amdhsa_kernel _ZN9rocsparseL22gebsrmvn_mxn_16_kernelILj105ELj15ELj7E21rocsparse_complex_numIdEEEvi20rocsparse_direction_NS_24const_host_device_scalarIT2_EEPKiS8_PKS5_iiSA_S6_PS5_21rocsparse_index_base_b
		.amdhsa_group_segment_fixed_size 1680
		.amdhsa_private_segment_fixed_size 0
		.amdhsa_kernarg_size 96
		.amdhsa_user_sgpr_count 2
		.amdhsa_user_sgpr_dispatch_ptr 0
		.amdhsa_user_sgpr_queue_ptr 0
		.amdhsa_user_sgpr_kernarg_segment_ptr 1
		.amdhsa_user_sgpr_dispatch_id 0
		.amdhsa_user_sgpr_kernarg_preload_length 0
		.amdhsa_user_sgpr_kernarg_preload_offset 0
		.amdhsa_user_sgpr_private_segment_size 0
		.amdhsa_wavefront_size32 1
		.amdhsa_uses_dynamic_stack 0
		.amdhsa_enable_private_segment 0
		.amdhsa_system_sgpr_workgroup_id_x 1
		.amdhsa_system_sgpr_workgroup_id_y 0
		.amdhsa_system_sgpr_workgroup_id_z 0
		.amdhsa_system_sgpr_workgroup_info 0
		.amdhsa_system_vgpr_workitem_id 0
		.amdhsa_next_free_vgpr 26
		.amdhsa_next_free_sgpr 16
		.amdhsa_named_barrier_count 0
		.amdhsa_reserve_vcc 1
		.amdhsa_float_round_mode_32 0
		.amdhsa_float_round_mode_16_64 0
		.amdhsa_float_denorm_mode_32 3
		.amdhsa_float_denorm_mode_16_64 3
		.amdhsa_fp16_overflow 0
		.amdhsa_memory_ordered 1
		.amdhsa_forward_progress 1
		.amdhsa_inst_pref_size 11
		.amdhsa_round_robin_scheduling 0
		.amdhsa_exception_fp_ieee_invalid_op 0
		.amdhsa_exception_fp_denorm_src 0
		.amdhsa_exception_fp_ieee_div_zero 0
		.amdhsa_exception_fp_ieee_overflow 0
		.amdhsa_exception_fp_ieee_underflow 0
		.amdhsa_exception_fp_ieee_inexact 0
		.amdhsa_exception_int_div_zero 0
	.end_amdhsa_kernel
	.section	.text._ZN9rocsparseL22gebsrmvn_mxn_16_kernelILj105ELj15ELj7E21rocsparse_complex_numIdEEEvi20rocsparse_direction_NS_24const_host_device_scalarIT2_EEPKiS8_PKS5_iiSA_S6_PS5_21rocsparse_index_base_b,"axG",@progbits,_ZN9rocsparseL22gebsrmvn_mxn_16_kernelILj105ELj15ELj7E21rocsparse_complex_numIdEEEvi20rocsparse_direction_NS_24const_host_device_scalarIT2_EEPKiS8_PKS5_iiSA_S6_PS5_21rocsparse_index_base_b,comdat
.Lfunc_end126:
	.size	_ZN9rocsparseL22gebsrmvn_mxn_16_kernelILj105ELj15ELj7E21rocsparse_complex_numIdEEEvi20rocsparse_direction_NS_24const_host_device_scalarIT2_EEPKiS8_PKS5_iiSA_S6_PS5_21rocsparse_index_base_b, .Lfunc_end126-_ZN9rocsparseL22gebsrmvn_mxn_16_kernelILj105ELj15ELj7E21rocsparse_complex_numIdEEEvi20rocsparse_direction_NS_24const_host_device_scalarIT2_EEPKiS8_PKS5_iiSA_S6_PS5_21rocsparse_index_base_b
                                        ; -- End function
	.set _ZN9rocsparseL22gebsrmvn_mxn_16_kernelILj105ELj15ELj7E21rocsparse_complex_numIdEEEvi20rocsparse_direction_NS_24const_host_device_scalarIT2_EEPKiS8_PKS5_iiSA_S6_PS5_21rocsparse_index_base_b.num_vgpr, 26
	.set _ZN9rocsparseL22gebsrmvn_mxn_16_kernelILj105ELj15ELj7E21rocsparse_complex_numIdEEEvi20rocsparse_direction_NS_24const_host_device_scalarIT2_EEPKiS8_PKS5_iiSA_S6_PS5_21rocsparse_index_base_b.num_agpr, 0
	.set _ZN9rocsparseL22gebsrmvn_mxn_16_kernelILj105ELj15ELj7E21rocsparse_complex_numIdEEEvi20rocsparse_direction_NS_24const_host_device_scalarIT2_EEPKiS8_PKS5_iiSA_S6_PS5_21rocsparse_index_base_b.numbered_sgpr, 16
	.set _ZN9rocsparseL22gebsrmvn_mxn_16_kernelILj105ELj15ELj7E21rocsparse_complex_numIdEEEvi20rocsparse_direction_NS_24const_host_device_scalarIT2_EEPKiS8_PKS5_iiSA_S6_PS5_21rocsparse_index_base_b.num_named_barrier, 0
	.set _ZN9rocsparseL22gebsrmvn_mxn_16_kernelILj105ELj15ELj7E21rocsparse_complex_numIdEEEvi20rocsparse_direction_NS_24const_host_device_scalarIT2_EEPKiS8_PKS5_iiSA_S6_PS5_21rocsparse_index_base_b.private_seg_size, 0
	.set _ZN9rocsparseL22gebsrmvn_mxn_16_kernelILj105ELj15ELj7E21rocsparse_complex_numIdEEEvi20rocsparse_direction_NS_24const_host_device_scalarIT2_EEPKiS8_PKS5_iiSA_S6_PS5_21rocsparse_index_base_b.uses_vcc, 1
	.set _ZN9rocsparseL22gebsrmvn_mxn_16_kernelILj105ELj15ELj7E21rocsparse_complex_numIdEEEvi20rocsparse_direction_NS_24const_host_device_scalarIT2_EEPKiS8_PKS5_iiSA_S6_PS5_21rocsparse_index_base_b.uses_flat_scratch, 0
	.set _ZN9rocsparseL22gebsrmvn_mxn_16_kernelILj105ELj15ELj7E21rocsparse_complex_numIdEEEvi20rocsparse_direction_NS_24const_host_device_scalarIT2_EEPKiS8_PKS5_iiSA_S6_PS5_21rocsparse_index_base_b.has_dyn_sized_stack, 0
	.set _ZN9rocsparseL22gebsrmvn_mxn_16_kernelILj105ELj15ELj7E21rocsparse_complex_numIdEEEvi20rocsparse_direction_NS_24const_host_device_scalarIT2_EEPKiS8_PKS5_iiSA_S6_PS5_21rocsparse_index_base_b.has_recursion, 0
	.set _ZN9rocsparseL22gebsrmvn_mxn_16_kernelILj105ELj15ELj7E21rocsparse_complex_numIdEEEvi20rocsparse_direction_NS_24const_host_device_scalarIT2_EEPKiS8_PKS5_iiSA_S6_PS5_21rocsparse_index_base_b.has_indirect_call, 0
	.section	.AMDGPU.csdata,"",@progbits
; Kernel info:
; codeLenInByte = 1312
; TotalNumSgprs: 18
; NumVgprs: 26
; ScratchSize: 0
; MemoryBound: 0
; FloatMode: 240
; IeeeMode: 1
; LDSByteSize: 1680 bytes/workgroup (compile time only)
; SGPRBlocks: 0
; VGPRBlocks: 1
; NumSGPRsForWavesPerEU: 18
; NumVGPRsForWavesPerEU: 26
; NamedBarCnt: 0
; Occupancy: 16
; WaveLimiterHint : 1
; COMPUTE_PGM_RSRC2:SCRATCH_EN: 0
; COMPUTE_PGM_RSRC2:USER_SGPR: 2
; COMPUTE_PGM_RSRC2:TRAP_HANDLER: 0
; COMPUTE_PGM_RSRC2:TGID_X_EN: 1
; COMPUTE_PGM_RSRC2:TGID_Y_EN: 0
; COMPUTE_PGM_RSRC2:TGID_Z_EN: 0
; COMPUTE_PGM_RSRC2:TIDIG_COMP_CNT: 0
	.section	.text._ZN9rocsparseL22gebsrmvn_mxn_16_kernelILj120ELj15ELj8E21rocsparse_complex_numIdEEEvi20rocsparse_direction_NS_24const_host_device_scalarIT2_EEPKiS8_PKS5_iiSA_S6_PS5_21rocsparse_index_base_b,"axG",@progbits,_ZN9rocsparseL22gebsrmvn_mxn_16_kernelILj120ELj15ELj8E21rocsparse_complex_numIdEEEvi20rocsparse_direction_NS_24const_host_device_scalarIT2_EEPKiS8_PKS5_iiSA_S6_PS5_21rocsparse_index_base_b,comdat
	.globl	_ZN9rocsparseL22gebsrmvn_mxn_16_kernelILj120ELj15ELj8E21rocsparse_complex_numIdEEEvi20rocsparse_direction_NS_24const_host_device_scalarIT2_EEPKiS8_PKS5_iiSA_S6_PS5_21rocsparse_index_base_b ; -- Begin function _ZN9rocsparseL22gebsrmvn_mxn_16_kernelILj120ELj15ELj8E21rocsparse_complex_numIdEEEvi20rocsparse_direction_NS_24const_host_device_scalarIT2_EEPKiS8_PKS5_iiSA_S6_PS5_21rocsparse_index_base_b
	.p2align	8
	.type	_ZN9rocsparseL22gebsrmvn_mxn_16_kernelILj120ELj15ELj8E21rocsparse_complex_numIdEEEvi20rocsparse_direction_NS_24const_host_device_scalarIT2_EEPKiS8_PKS5_iiSA_S6_PS5_21rocsparse_index_base_b,@function
_ZN9rocsparseL22gebsrmvn_mxn_16_kernelILj120ELj15ELj8E21rocsparse_complex_numIdEEEvi20rocsparse_direction_NS_24const_host_device_scalarIT2_EEPKiS8_PKS5_iiSA_S6_PS5_21rocsparse_index_base_b: ; @_ZN9rocsparseL22gebsrmvn_mxn_16_kernelILj120ELj15ELj8E21rocsparse_complex_numIdEEEvi20rocsparse_direction_NS_24const_host_device_scalarIT2_EEPKiS8_PKS5_iiSA_S6_PS5_21rocsparse_index_base_b
; %bb.0:
	s_clause 0x1
	s_load_b64 s[10:11], s[0:1], 0x58
	s_load_b64 s[2:3], s[0:1], 0x8
	v_mov_b32_e32 v1, 0
	s_add_nc_u64 s[4:5], s[0:1], 8
	s_load_b64 s[6:7], s[0:1], 0x40
	s_wait_kmcnt 0x0
	s_bitcmp1_b32 s11, 0
	s_cselect_b32 s3, s5, s3
	s_cselect_b32 s2, s4, s2
	flat_load_b128 v[6:9], v1, s[2:3]
	s_wait_xcnt 0x0
	s_add_nc_u64 s[2:3], s[0:1], 64
	s_delay_alu instid0(SALU_CYCLE_1)
	s_cselect_b32 s3, s3, s7
	s_cselect_b32 s2, s2, s6
	flat_load_b128 v[2:5], v1, s[2:3]
	s_wait_loadcnt_dscnt 0x101
	v_cmp_eq_f64_e32 vcc_lo, 0, v[6:7]
	s_wait_xcnt 0x0
	v_cmp_eq_f64_e64 s2, 0, v[8:9]
	s_and_b32 s4, vcc_lo, s2
	s_mov_b32 s2, -1
	s_and_saveexec_b32 s3, s4
	s_cbranch_execz .LBB127_2
; %bb.1:
	s_wait_loadcnt_dscnt 0x0
	v_cmp_neq_f64_e32 vcc_lo, 1.0, v[2:3]
	v_cmp_neq_f64_e64 s2, 0, v[4:5]
	s_or_b32 s2, vcc_lo, s2
	s_delay_alu instid0(SALU_CYCLE_1)
	s_or_not1_b32 s2, s2, exec_lo
.LBB127_2:
	s_or_b32 exec_lo, exec_lo, s3
	s_and_saveexec_b32 s3, s2
	s_cbranch_execz .LBB127_35
; %bb.3:
	s_clause 0x1
	s_load_b32 s4, s[0:1], 0x4
	s_load_b64 s[2:3], s[0:1], 0x18
	v_and_b32_e32 v14, 7, v0
	s_delay_alu instid0(VALU_DEP_1) | instskip(SKIP_3) | instid1(SALU_CYCLE_1)
	v_mov_b32_e32 v1, v14
	s_wait_kmcnt 0x0
	s_cmp_lg_u32 s4, 1
	s_cselect_b32 s11, -1, 0
	s_and_b32 vcc_lo, exec_lo, s11
	s_cbranch_vccnz .LBB127_5
; %bb.4:
	v_mul_u32_u24_e32 v1, 0x1112, v0
	s_delay_alu instid0(VALU_DEP_1)
	v_bfe_u32 v1, v1, 16, 3
.LBB127_5:
	s_bfe_u32 s4, ttmp6, 0x4000c
	s_and_b32 s5, ttmp6, 15
	s_add_co_i32 s4, s4, 1
	s_getreg_b32 s6, hwreg(HW_REG_IB_STS2, 6, 4)
	s_mul_i32 s4, ttmp9, s4
	v_mov_b64_e32 v[12:13], 0
	s_add_co_i32 s5, s5, s4
	s_cmp_eq_u32 s6, 0
	v_mov_b64_e32 v[10:11], 0
	s_cselect_b32 s8, ttmp9, s5
	s_delay_alu instid0(SALU_CYCLE_1) | instskip(NEXT) | instid1(SALU_CYCLE_1)
	s_ashr_i32 s9, s8, 31
	s_lshl_b64 s[4:5], s[8:9], 2
	s_delay_alu instid0(SALU_CYCLE_1)
	s_add_nc_u64 s[4:5], s[2:3], s[4:5]
	s_load_b64 s[14:15], s[4:5], 0x0
	s_load_b64 s[2:3], s[0:1], 0x50
	s_wait_kmcnt 0x0
	s_cmp_ge_i32 s14, s15
	s_cbranch_scc1 .LBB127_10
; %bb.6:
	s_clause 0x1
	s_load_b128 s[4:7], s[0:1], 0x20
	s_load_b64 s[12:13], s[0:1], 0x38
	v_mad_u32 v10, 0x78, s14, v0
	v_mov_b64_e32 v[12:13], 0
	v_mul_u32_u24_e32 v11, 0x223, v0
	s_wait_xcnt 0x0
	s_mul_i32 s0, s10, 0x78
	s_sub_co_i32 s1, s14, s10
	s_delay_alu instid0(VALU_DEP_1) | instskip(NEXT) | instid1(VALU_DEP_4)
	v_lshrrev_b32_e32 v15, 16, v11
	v_subrev_nc_u32_e32 v16, s0, v10
	v_mov_b64_e32 v[10:11], v[12:13]
	s_sub_co_i32 s0, s15, s10
	s_branch .LBB127_8
.LBB127_7:                              ;   in Loop: Header=BB127_8 Depth=1
	s_or_b32 exec_lo, exec_lo, s9
	v_add_nc_u32_e32 v16, 0x78, v16
	s_add_co_i32 s1, s1, 1
	s_delay_alu instid0(SALU_CYCLE_1)
	s_cmp_ge_i32 s1, s0
	s_cbranch_scc1 .LBB127_10
.LBB127_8:                              ; =>This Inner Loop Header: Depth=1
	v_add_nc_u32_e32 v17, s1, v15
	s_mov_b32 s9, exec_lo
	s_delay_alu instid0(VALU_DEP_1)
	v_cmpx_gt_i32_e64 s0, v17
	s_cbranch_execz .LBB127_7
; %bb.9:                                ;   in Loop: Header=BB127_8 Depth=1
	s_wait_kmcnt 0x0
	global_load_b32 v17, v17, s[4:5] scale_offset
	s_wait_loadcnt 0x0
	v_subrev_nc_u32_e32 v17, s10, v17
	s_delay_alu instid0(VALU_DEP_1)
	v_lshl_or_b32 v17, v17, 3, v1
	global_load_b128 v[18:21], v16, s[6:7] scale_offset
	global_load_b128 v[22:25], v17, s[12:13] scale_offset
	s_wait_loadcnt 0x0
	v_fmac_f64_e32 v[10:11], v[18:19], v[22:23]
	v_fmac_f64_e32 v[12:13], v[20:21], v[22:23]
	s_delay_alu instid0(VALU_DEP_2) | instskip(NEXT) | instid1(VALU_DEP_2)
	v_fma_f64 v[10:11], -v[20:21], v[24:25], v[10:11]
	v_fmac_f64_e32 v[12:13], v[18:19], v[24:25]
	s_branch .LBB127_7
.LBB127_10:
	v_lshlrev_b32_e32 v1, 4, v0
	s_and_b32 vcc_lo, exec_lo, s11
	ds_store_b128 v1, v[10:13]
	s_wait_loadcnt_dscnt 0x0
	s_barrier_signal -1
	s_barrier_wait -1
	s_cbranch_vccz .LBB127_20
; %bb.11:
	s_mov_b32 s0, exec_lo
	v_cmpx_gt_u32_e32 4, v14
	s_cbranch_execz .LBB127_13
; %bb.12:
	ds_load_b128 v[16:19], v1 offset:64
	ds_load_b128 v[20:23], v1
	s_wait_dscnt 0x0
	v_add_f64_e32 v[16:17], v[16:17], v[20:21]
	v_add_f64_e32 v[18:19], v[18:19], v[22:23]
	ds_store_b128 v1, v[16:19]
.LBB127_13:
	s_or_b32 exec_lo, exec_lo, s0
	s_delay_alu instid0(SALU_CYCLE_1)
	s_mov_b32 s0, exec_lo
	s_wait_dscnt 0x0
	s_barrier_signal -1
	s_barrier_wait -1
	v_cmpx_gt_u32_e32 2, v14
	s_cbranch_execz .LBB127_15
; %bb.14:
	ds_load_b128 v[16:19], v1
	ds_load_b128 v[20:23], v1 offset:32
	s_wait_dscnt 0x0
	v_add_f64_e32 v[16:17], v[20:21], v[16:17]
	v_add_f64_e32 v[18:19], v[22:23], v[18:19]
	ds_store_b128 v1, v[16:19]
.LBB127_15:
	s_or_b32 exec_lo, exec_lo, s0
	s_delay_alu instid0(SALU_CYCLE_1)
	s_mov_b32 s0, exec_lo
	s_wait_dscnt 0x0
	s_barrier_signal -1
	s_barrier_wait -1
	v_cmpx_eq_u32_e32 0, v14
	s_cbranch_execz .LBB127_17
; %bb.16:
	ds_load_b128 v[14:17], v1
	ds_load_b128 v[18:21], v1 offset:16
	s_wait_dscnt 0x0
	v_add_f64_e32 v[14:15], v[18:19], v[14:15]
	v_add_f64_e32 v[16:17], v[20:21], v[16:17]
	ds_store_b128 v1, v[14:17]
.LBB127_17:
	s_or_b32 exec_lo, exec_lo, s0
	v_mov_b64_e32 v[16:17], v[12:13]
	v_mov_b64_e32 v[14:15], v[10:11]
	s_mov_b32 s0, exec_lo
	s_wait_dscnt 0x0
	s_barrier_signal -1
	s_barrier_wait -1
	v_cmpx_gt_u32_e32 15, v0
; %bb.18:
	v_mad_u32_u24 v14, 0x70, v0, v1
	ds_load_b128 v[14:17], v14
; %bb.19:
	s_or_b32 exec_lo, exec_lo, s0
	s_branch .LBB127_30
.LBB127_20:
                                        ; implicit-def: $vgpr16_vgpr17
	s_cbranch_execz .LBB127_30
; %bb.21:
	s_mov_b32 s0, exec_lo
	v_cmpx_gt_u32_e32 60, v0
	s_cbranch_execz .LBB127_23
; %bb.22:
	s_wait_dscnt 0x0
	ds_load_b128 v[14:17], v1 offset:960
	ds_load_b128 v[18:21], v1
	s_wait_dscnt 0x0
	v_add_f64_e32 v[14:15], v[14:15], v[18:19]
	v_add_f64_e32 v[16:17], v[16:17], v[20:21]
	ds_store_b128 v1, v[14:17]
.LBB127_23:
	s_or_b32 exec_lo, exec_lo, s0
	s_delay_alu instid0(SALU_CYCLE_1)
	s_mov_b32 s0, exec_lo
	s_wait_dscnt 0x0
	s_barrier_signal -1
	s_barrier_wait -1
	v_cmpx_gt_u32_e32 30, v0
	s_cbranch_execz .LBB127_25
; %bb.24:
	ds_load_b128 v[14:17], v1 offset:480
	ds_load_b128 v[18:21], v1
	s_wait_dscnt 0x0
	v_add_f64_e32 v[14:15], v[14:15], v[18:19]
	v_add_f64_e32 v[16:17], v[16:17], v[20:21]
	ds_store_b128 v1, v[14:17]
.LBB127_25:
	s_or_b32 exec_lo, exec_lo, s0
	s_delay_alu instid0(SALU_CYCLE_1)
	s_mov_b32 s0, exec_lo
	s_wait_dscnt 0x0
	v_cmpx_lt_u32_e32 14, v0
	s_xor_b32 s0, exec_lo, s0
; %bb.26:
                                        ; implicit-def: $vgpr1
; %bb.27:
	s_delay_alu instid0(SALU_CYCLE_1)
	s_and_not1_saveexec_b32 s0, s0
	s_cbranch_execz .LBB127_29
; %bb.28:
	ds_load_b128 v[10:13], v1 offset:240
	ds_load_b128 v[14:17], v1
	s_wait_dscnt 0x0
	v_add_f64_e32 v[10:11], v[10:11], v[14:15]
	v_add_f64_e32 v[12:13], v[12:13], v[16:17]
	ds_store_b128 v1, v[10:13]
	s_wait_dscnt 0x0
	ds_load_b128 v[10:13], v1
.LBB127_29:
	s_or_b32 exec_lo, exec_lo, s0
	s_wait_dscnt 0x0
	v_mov_b64_e32 v[16:17], v[12:13]
	v_mov_b64_e32 v[14:15], v[10:11]
.LBB127_30:
	v_cmp_gt_u32_e32 vcc_lo, 15, v0
	s_and_b32 exec_lo, exec_lo, vcc_lo
	s_cbranch_execz .LBB127_35
; %bb.31:
	s_wait_dscnt 0x0
	s_delay_alu instid0(VALU_DEP_3)
	v_mul_f64_e64 v[10:11], v[16:17], -v[8:9]
	v_mul_f64_e32 v[12:13], v[6:7], v[16:17]
	v_cmp_eq_f64_e32 vcc_lo, 0, v[2:3]
	v_cmp_eq_f64_e64 s0, 0, v[4:5]
	v_mad_u32 v0, s8, 15, v0
	v_fmac_f64_e32 v[10:11], v[6:7], v[14:15]
	v_fmac_f64_e32 v[12:13], v[8:9], v[14:15]
	s_and_b32 s0, vcc_lo, s0
	s_delay_alu instid0(SALU_CYCLE_1) | instskip(NEXT) | instid1(SALU_CYCLE_1)
	s_and_saveexec_b32 s1, s0
	s_xor_b32 s0, exec_lo, s1
	s_cbranch_execz .LBB127_33
; %bb.32:
	global_store_b128 v0, v[10:13], s[2:3] scale_offset
                                        ; implicit-def: $vgpr0
                                        ; implicit-def: $vgpr2_vgpr3
                                        ; implicit-def: $vgpr10_vgpr11
.LBB127_33:
	s_wait_xcnt 0x0
	s_and_not1_saveexec_b32 s0, s0
	s_cbranch_execz .LBB127_35
; %bb.34:
	global_load_b128 v[6:9], v0, s[2:3] scale_offset
	s_wait_loadcnt 0x0
	v_fmac_f64_e32 v[10:11], v[2:3], v[6:7]
	v_fmac_f64_e32 v[12:13], v[4:5], v[6:7]
	s_delay_alu instid0(VALU_DEP_2) | instskip(NEXT) | instid1(VALU_DEP_2)
	v_fma_f64 v[10:11], -v[4:5], v[8:9], v[10:11]
	v_fmac_f64_e32 v[12:13], v[2:3], v[8:9]
	global_store_b128 v0, v[10:13], s[2:3] scale_offset
.LBB127_35:
	s_endpgm
	.section	.rodata,"a",@progbits
	.p2align	6, 0x0
	.amdhsa_kernel _ZN9rocsparseL22gebsrmvn_mxn_16_kernelILj120ELj15ELj8E21rocsparse_complex_numIdEEEvi20rocsparse_direction_NS_24const_host_device_scalarIT2_EEPKiS8_PKS5_iiSA_S6_PS5_21rocsparse_index_base_b
		.amdhsa_group_segment_fixed_size 1920
		.amdhsa_private_segment_fixed_size 0
		.amdhsa_kernarg_size 96
		.amdhsa_user_sgpr_count 2
		.amdhsa_user_sgpr_dispatch_ptr 0
		.amdhsa_user_sgpr_queue_ptr 0
		.amdhsa_user_sgpr_kernarg_segment_ptr 1
		.amdhsa_user_sgpr_dispatch_id 0
		.amdhsa_user_sgpr_kernarg_preload_length 0
		.amdhsa_user_sgpr_kernarg_preload_offset 0
		.amdhsa_user_sgpr_private_segment_size 0
		.amdhsa_wavefront_size32 1
		.amdhsa_uses_dynamic_stack 0
		.amdhsa_enable_private_segment 0
		.amdhsa_system_sgpr_workgroup_id_x 1
		.amdhsa_system_sgpr_workgroup_id_y 0
		.amdhsa_system_sgpr_workgroup_id_z 0
		.amdhsa_system_sgpr_workgroup_info 0
		.amdhsa_system_vgpr_workitem_id 0
		.amdhsa_next_free_vgpr 26
		.amdhsa_next_free_sgpr 16
		.amdhsa_named_barrier_count 0
		.amdhsa_reserve_vcc 1
		.amdhsa_float_round_mode_32 0
		.amdhsa_float_round_mode_16_64 0
		.amdhsa_float_denorm_mode_32 3
		.amdhsa_float_denorm_mode_16_64 3
		.amdhsa_fp16_overflow 0
		.amdhsa_memory_ordered 1
		.amdhsa_forward_progress 1
		.amdhsa_inst_pref_size 10
		.amdhsa_round_robin_scheduling 0
		.amdhsa_exception_fp_ieee_invalid_op 0
		.amdhsa_exception_fp_denorm_src 0
		.amdhsa_exception_fp_ieee_div_zero 0
		.amdhsa_exception_fp_ieee_overflow 0
		.amdhsa_exception_fp_ieee_underflow 0
		.amdhsa_exception_fp_ieee_inexact 0
		.amdhsa_exception_int_div_zero 0
	.end_amdhsa_kernel
	.section	.text._ZN9rocsparseL22gebsrmvn_mxn_16_kernelILj120ELj15ELj8E21rocsparse_complex_numIdEEEvi20rocsparse_direction_NS_24const_host_device_scalarIT2_EEPKiS8_PKS5_iiSA_S6_PS5_21rocsparse_index_base_b,"axG",@progbits,_ZN9rocsparseL22gebsrmvn_mxn_16_kernelILj120ELj15ELj8E21rocsparse_complex_numIdEEEvi20rocsparse_direction_NS_24const_host_device_scalarIT2_EEPKiS8_PKS5_iiSA_S6_PS5_21rocsparse_index_base_b,comdat
.Lfunc_end127:
	.size	_ZN9rocsparseL22gebsrmvn_mxn_16_kernelILj120ELj15ELj8E21rocsparse_complex_numIdEEEvi20rocsparse_direction_NS_24const_host_device_scalarIT2_EEPKiS8_PKS5_iiSA_S6_PS5_21rocsparse_index_base_b, .Lfunc_end127-_ZN9rocsparseL22gebsrmvn_mxn_16_kernelILj120ELj15ELj8E21rocsparse_complex_numIdEEEvi20rocsparse_direction_NS_24const_host_device_scalarIT2_EEPKiS8_PKS5_iiSA_S6_PS5_21rocsparse_index_base_b
                                        ; -- End function
	.set _ZN9rocsparseL22gebsrmvn_mxn_16_kernelILj120ELj15ELj8E21rocsparse_complex_numIdEEEvi20rocsparse_direction_NS_24const_host_device_scalarIT2_EEPKiS8_PKS5_iiSA_S6_PS5_21rocsparse_index_base_b.num_vgpr, 26
	.set _ZN9rocsparseL22gebsrmvn_mxn_16_kernelILj120ELj15ELj8E21rocsparse_complex_numIdEEEvi20rocsparse_direction_NS_24const_host_device_scalarIT2_EEPKiS8_PKS5_iiSA_S6_PS5_21rocsparse_index_base_b.num_agpr, 0
	.set _ZN9rocsparseL22gebsrmvn_mxn_16_kernelILj120ELj15ELj8E21rocsparse_complex_numIdEEEvi20rocsparse_direction_NS_24const_host_device_scalarIT2_EEPKiS8_PKS5_iiSA_S6_PS5_21rocsparse_index_base_b.numbered_sgpr, 16
	.set _ZN9rocsparseL22gebsrmvn_mxn_16_kernelILj120ELj15ELj8E21rocsparse_complex_numIdEEEvi20rocsparse_direction_NS_24const_host_device_scalarIT2_EEPKiS8_PKS5_iiSA_S6_PS5_21rocsparse_index_base_b.num_named_barrier, 0
	.set _ZN9rocsparseL22gebsrmvn_mxn_16_kernelILj120ELj15ELj8E21rocsparse_complex_numIdEEEvi20rocsparse_direction_NS_24const_host_device_scalarIT2_EEPKiS8_PKS5_iiSA_S6_PS5_21rocsparse_index_base_b.private_seg_size, 0
	.set _ZN9rocsparseL22gebsrmvn_mxn_16_kernelILj120ELj15ELj8E21rocsparse_complex_numIdEEEvi20rocsparse_direction_NS_24const_host_device_scalarIT2_EEPKiS8_PKS5_iiSA_S6_PS5_21rocsparse_index_base_b.uses_vcc, 1
	.set _ZN9rocsparseL22gebsrmvn_mxn_16_kernelILj120ELj15ELj8E21rocsparse_complex_numIdEEEvi20rocsparse_direction_NS_24const_host_device_scalarIT2_EEPKiS8_PKS5_iiSA_S6_PS5_21rocsparse_index_base_b.uses_flat_scratch, 0
	.set _ZN9rocsparseL22gebsrmvn_mxn_16_kernelILj120ELj15ELj8E21rocsparse_complex_numIdEEEvi20rocsparse_direction_NS_24const_host_device_scalarIT2_EEPKiS8_PKS5_iiSA_S6_PS5_21rocsparse_index_base_b.has_dyn_sized_stack, 0
	.set _ZN9rocsparseL22gebsrmvn_mxn_16_kernelILj120ELj15ELj8E21rocsparse_complex_numIdEEEvi20rocsparse_direction_NS_24const_host_device_scalarIT2_EEPKiS8_PKS5_iiSA_S6_PS5_21rocsparse_index_base_b.has_recursion, 0
	.set _ZN9rocsparseL22gebsrmvn_mxn_16_kernelILj120ELj15ELj8E21rocsparse_complex_numIdEEEvi20rocsparse_direction_NS_24const_host_device_scalarIT2_EEPKiS8_PKS5_iiSA_S6_PS5_21rocsparse_index_base_b.has_indirect_call, 0
	.section	.AMDGPU.csdata,"",@progbits
; Kernel info:
; codeLenInByte = 1224
; TotalNumSgprs: 18
; NumVgprs: 26
; ScratchSize: 0
; MemoryBound: 0
; FloatMode: 240
; IeeeMode: 1
; LDSByteSize: 1920 bytes/workgroup (compile time only)
; SGPRBlocks: 0
; VGPRBlocks: 1
; NumSGPRsForWavesPerEU: 18
; NumVGPRsForWavesPerEU: 26
; NamedBarCnt: 0
; Occupancy: 16
; WaveLimiterHint : 1
; COMPUTE_PGM_RSRC2:SCRATCH_EN: 0
; COMPUTE_PGM_RSRC2:USER_SGPR: 2
; COMPUTE_PGM_RSRC2:TRAP_HANDLER: 0
; COMPUTE_PGM_RSRC2:TGID_X_EN: 1
; COMPUTE_PGM_RSRC2:TGID_Y_EN: 0
; COMPUTE_PGM_RSRC2:TGID_Z_EN: 0
; COMPUTE_PGM_RSRC2:TIDIG_COMP_CNT: 0
	.section	.text._ZN9rocsparseL22gebsrmvn_mxn_16_kernelILj64ELj16ELj1E21rocsparse_complex_numIdEEEvi20rocsparse_direction_NS_24const_host_device_scalarIT2_EEPKiS8_PKS5_iiSA_S6_PS5_21rocsparse_index_base_b,"axG",@progbits,_ZN9rocsparseL22gebsrmvn_mxn_16_kernelILj64ELj16ELj1E21rocsparse_complex_numIdEEEvi20rocsparse_direction_NS_24const_host_device_scalarIT2_EEPKiS8_PKS5_iiSA_S6_PS5_21rocsparse_index_base_b,comdat
	.globl	_ZN9rocsparseL22gebsrmvn_mxn_16_kernelILj64ELj16ELj1E21rocsparse_complex_numIdEEEvi20rocsparse_direction_NS_24const_host_device_scalarIT2_EEPKiS8_PKS5_iiSA_S6_PS5_21rocsparse_index_base_b ; -- Begin function _ZN9rocsparseL22gebsrmvn_mxn_16_kernelILj64ELj16ELj1E21rocsparse_complex_numIdEEEvi20rocsparse_direction_NS_24const_host_device_scalarIT2_EEPKiS8_PKS5_iiSA_S6_PS5_21rocsparse_index_base_b
	.p2align	8
	.type	_ZN9rocsparseL22gebsrmvn_mxn_16_kernelILj64ELj16ELj1E21rocsparse_complex_numIdEEEvi20rocsparse_direction_NS_24const_host_device_scalarIT2_EEPKiS8_PKS5_iiSA_S6_PS5_21rocsparse_index_base_b,@function
_ZN9rocsparseL22gebsrmvn_mxn_16_kernelILj64ELj16ELj1E21rocsparse_complex_numIdEEEvi20rocsparse_direction_NS_24const_host_device_scalarIT2_EEPKiS8_PKS5_iiSA_S6_PS5_21rocsparse_index_base_b: ; @_ZN9rocsparseL22gebsrmvn_mxn_16_kernelILj64ELj16ELj1E21rocsparse_complex_numIdEEEvi20rocsparse_direction_NS_24const_host_device_scalarIT2_EEPKiS8_PKS5_iiSA_S6_PS5_21rocsparse_index_base_b
; %bb.0:
	s_clause 0x1
	s_load_b64 s[10:11], s[0:1], 0x58
	s_load_b64 s[2:3], s[0:1], 0x8
	v_mov_b32_e32 v1, 0
	s_add_nc_u64 s[4:5], s[0:1], 8
	s_load_b64 s[6:7], s[0:1], 0x40
	s_wait_kmcnt 0x0
	s_bitcmp1_b32 s11, 0
	s_cselect_b32 s3, s5, s3
	s_cselect_b32 s2, s4, s2
	flat_load_b128 v[6:9], v1, s[2:3]
	s_wait_xcnt 0x0
	s_add_nc_u64 s[2:3], s[0:1], 64
	s_delay_alu instid0(SALU_CYCLE_1)
	s_cselect_b32 s3, s3, s7
	s_cselect_b32 s2, s2, s6
	flat_load_b128 v[2:5], v1, s[2:3]
	s_wait_loadcnt_dscnt 0x101
	v_cmp_eq_f64_e32 vcc_lo, 0, v[6:7]
	s_wait_xcnt 0x0
	v_cmp_eq_f64_e64 s2, 0, v[8:9]
	s_and_b32 s4, vcc_lo, s2
	s_mov_b32 s2, -1
	s_and_saveexec_b32 s3, s4
	s_cbranch_execz .LBB128_2
; %bb.1:
	s_wait_loadcnt_dscnt 0x0
	v_cmp_neq_f64_e32 vcc_lo, 1.0, v[2:3]
	v_cmp_neq_f64_e64 s2, 0, v[4:5]
	s_or_b32 s2, vcc_lo, s2
	s_delay_alu instid0(SALU_CYCLE_1)
	s_or_not1_b32 s2, s2, exec_lo
.LBB128_2:
	s_or_b32 exec_lo, exec_lo, s3
	s_and_saveexec_b32 s3, s2
	s_cbranch_execz .LBB128_19
; %bb.3:
	s_load_b64 s[2:3], s[0:1], 0x18
	s_bfe_u32 s4, ttmp6, 0x4000c
	s_and_b32 s5, ttmp6, 15
	s_add_co_i32 s4, s4, 1
	s_getreg_b32 s6, hwreg(HW_REG_IB_STS2, 6, 4)
	s_mul_i32 s4, ttmp9, s4
	s_delay_alu instid0(SALU_CYCLE_1) | instskip(SKIP_2) | instid1(SALU_CYCLE_1)
	s_add_co_i32 s5, s5, s4
	s_cmp_eq_u32 s6, 0
	s_cselect_b32 s8, ttmp9, s5
	s_ashr_i32 s9, s8, 31
	s_delay_alu instid0(SALU_CYCLE_1)
	s_lshl_b64 s[4:5], s[8:9], 2
	s_wait_kmcnt 0x0
	s_add_nc_u64 s[2:3], s[2:3], s[4:5]
	s_mov_b32 s4, 0
	s_load_b64 s[14:15], s[2:3], 0x0
	s_wait_kmcnt 0x0
	s_cmp_lt_i32 s14, s15
	s_cbranch_scc0 .LBB128_5
; %bb.4:
	s_mov_b32 s4, -1
.LBB128_5:
	s_load_b64 s[2:3], s[0:1], 0x50
	v_mov_b64_e32 v[12:13], 0
	v_mov_b64_e32 v[10:11], 0
	s_and_not1_b32 vcc_lo, exec_lo, s4
	s_cbranch_vccnz .LBB128_10
; %bb.6:
	s_clause 0x1
	s_load_b128 s[4:7], s[0:1], 0x20
	s_load_b64 s[12:13], s[0:1], 0x38
	v_mov_b64_e32 v[12:13], 0
	v_lshl_add_u32 v10, s14, 4, v0
	s_wait_xcnt 0x0
	s_lshl_b32 s0, s10, 4
	v_lshrrev_b32_e32 v1, 4, v0
	s_sub_co_i32 s1, s14, s10
	v_subrev_nc_u32_e32 v14, s0, v10
	v_mov_b64_e32 v[10:11], v[12:13]
	s_sub_co_i32 s0, s15, s10
	s_branch .LBB128_8
.LBB128_7:                              ;   in Loop: Header=BB128_8 Depth=1
	s_or_b32 exec_lo, exec_lo, s9
	v_add_nc_u32_e32 v14, 64, v14
	s_add_co_i32 s1, s1, 4
	s_delay_alu instid0(SALU_CYCLE_1)
	s_cmp_ge_i32 s1, s0
	s_cbranch_scc1 .LBB128_10
.LBB128_8:                              ; =>This Inner Loop Header: Depth=1
	v_add_nc_u32_e32 v15, s1, v1
	s_mov_b32 s9, exec_lo
	s_delay_alu instid0(VALU_DEP_1)
	v_cmpx_gt_i32_e64 s0, v15
	s_cbranch_execz .LBB128_7
; %bb.9:                                ;   in Loop: Header=BB128_8 Depth=1
	s_wait_kmcnt 0x0
	global_load_b32 v15, v15, s[4:5] scale_offset
	s_wait_loadcnt 0x0
	v_subrev_nc_u32_e32 v15, s10, v15
	global_load_b128 v[16:19], v14, s[6:7] scale_offset
	global_load_b128 v[20:23], v15, s[12:13] scale_offset
	s_wait_loadcnt 0x0
	v_fmac_f64_e32 v[10:11], v[16:17], v[20:21]
	v_fmac_f64_e32 v[12:13], v[18:19], v[20:21]
	s_delay_alu instid0(VALU_DEP_2) | instskip(NEXT) | instid1(VALU_DEP_2)
	v_fma_f64 v[10:11], -v[18:19], v[22:23], v[10:11]
	v_fmac_f64_e32 v[12:13], v[16:17], v[22:23]
	s_branch .LBB128_7
.LBB128_10:
	v_lshlrev_b32_e32 v1, 4, v0
	s_wait_xcnt 0x0
	s_mov_b32 s0, exec_lo
	ds_store_b128 v1, v[10:13]
	s_wait_loadcnt_dscnt 0x0
	s_barrier_signal -1
	s_barrier_wait -1
	v_cmpx_gt_u32_e32 32, v0
	s_cbranch_execz .LBB128_12
; %bb.11:
	ds_load_b128 v[10:13], v1 offset:512
	ds_load_b128 v[14:17], v1
	s_wait_dscnt 0x0
	v_add_f64_e32 v[10:11], v[10:11], v[14:15]
	v_add_f64_e32 v[12:13], v[12:13], v[16:17]
	ds_store_b128 v1, v[10:13]
.LBB128_12:
	s_or_b32 exec_lo, exec_lo, s0
	v_cmp_gt_u32_e32 vcc_lo, 16, v0
	s_wait_dscnt 0x0
	s_barrier_signal -1
	s_barrier_wait -1
	s_and_saveexec_b32 s0, vcc_lo
	s_cbranch_execz .LBB128_14
; %bb.13:
	ds_load_b128 v[10:13], v1 offset:256
	ds_load_b128 v[14:17], v1
	s_wait_dscnt 0x0
	v_add_f64_e32 v[10:11], v[10:11], v[14:15]
	v_add_f64_e32 v[12:13], v[12:13], v[16:17]
	ds_store_b128 v1, v[10:13]
.LBB128_14:
	s_or_b32 exec_lo, exec_lo, s0
	s_wait_dscnt 0x0
	s_barrier_signal -1
	s_barrier_wait -1
	s_and_b32 exec_lo, exec_lo, vcc_lo
	s_cbranch_execz .LBB128_19
; %bb.15:
	ds_load_b128 v[14:17], v1
	v_cmp_eq_f64_e32 vcc_lo, 0, v[2:3]
	v_cmp_eq_f64_e64 s0, 0, v[4:5]
	v_lshl_or_b32 v0, s8, 4, v0
	s_wait_dscnt 0x0
	v_mul_f64_e64 v[10:11], v[16:17], -v[8:9]
	v_mul_f64_e32 v[12:13], v[6:7], v[16:17]
	s_and_b32 s0, vcc_lo, s0
	s_delay_alu instid0(VALU_DEP_2) | instskip(NEXT) | instid1(VALU_DEP_2)
	v_fmac_f64_e32 v[10:11], v[6:7], v[14:15]
	v_fmac_f64_e32 v[12:13], v[8:9], v[14:15]
	s_and_saveexec_b32 s1, s0
	s_delay_alu instid0(SALU_CYCLE_1)
	s_xor_b32 s0, exec_lo, s1
	s_cbranch_execz .LBB128_17
; %bb.16:
	s_wait_kmcnt 0x0
	global_store_b128 v0, v[10:13], s[2:3] scale_offset
                                        ; implicit-def: $vgpr0
                                        ; implicit-def: $vgpr2_vgpr3
                                        ; implicit-def: $vgpr10_vgpr11
.LBB128_17:
	s_wait_xcnt 0x0
	s_and_not1_saveexec_b32 s0, s0
	s_cbranch_execz .LBB128_19
; %bb.18:
	s_wait_kmcnt 0x0
	global_load_b128 v[6:9], v0, s[2:3] scale_offset
	s_wait_loadcnt 0x0
	v_fmac_f64_e32 v[10:11], v[2:3], v[6:7]
	v_fmac_f64_e32 v[12:13], v[4:5], v[6:7]
	s_delay_alu instid0(VALU_DEP_2) | instskip(NEXT) | instid1(VALU_DEP_2)
	v_fma_f64 v[10:11], -v[4:5], v[8:9], v[10:11]
	v_fmac_f64_e32 v[12:13], v[2:3], v[8:9]
	global_store_b128 v0, v[10:13], s[2:3] scale_offset
.LBB128_19:
	s_endpgm
	.section	.rodata,"a",@progbits
	.p2align	6, 0x0
	.amdhsa_kernel _ZN9rocsparseL22gebsrmvn_mxn_16_kernelILj64ELj16ELj1E21rocsparse_complex_numIdEEEvi20rocsparse_direction_NS_24const_host_device_scalarIT2_EEPKiS8_PKS5_iiSA_S6_PS5_21rocsparse_index_base_b
		.amdhsa_group_segment_fixed_size 1024
		.amdhsa_private_segment_fixed_size 0
		.amdhsa_kernarg_size 96
		.amdhsa_user_sgpr_count 2
		.amdhsa_user_sgpr_dispatch_ptr 0
		.amdhsa_user_sgpr_queue_ptr 0
		.amdhsa_user_sgpr_kernarg_segment_ptr 1
		.amdhsa_user_sgpr_dispatch_id 0
		.amdhsa_user_sgpr_kernarg_preload_length 0
		.amdhsa_user_sgpr_kernarg_preload_offset 0
		.amdhsa_user_sgpr_private_segment_size 0
		.amdhsa_wavefront_size32 1
		.amdhsa_uses_dynamic_stack 0
		.amdhsa_enable_private_segment 0
		.amdhsa_system_sgpr_workgroup_id_x 1
		.amdhsa_system_sgpr_workgroup_id_y 0
		.amdhsa_system_sgpr_workgroup_id_z 0
		.amdhsa_system_sgpr_workgroup_info 0
		.amdhsa_system_vgpr_workitem_id 0
		.amdhsa_next_free_vgpr 24
		.amdhsa_next_free_sgpr 16
		.amdhsa_named_barrier_count 0
		.amdhsa_reserve_vcc 1
		.amdhsa_float_round_mode_32 0
		.amdhsa_float_round_mode_16_64 0
		.amdhsa_float_denorm_mode_32 3
		.amdhsa_float_denorm_mode_16_64 3
		.amdhsa_fp16_overflow 0
		.amdhsa_memory_ordered 1
		.amdhsa_forward_progress 1
		.amdhsa_inst_pref_size 7
		.amdhsa_round_robin_scheduling 0
		.amdhsa_exception_fp_ieee_invalid_op 0
		.amdhsa_exception_fp_denorm_src 0
		.amdhsa_exception_fp_ieee_div_zero 0
		.amdhsa_exception_fp_ieee_overflow 0
		.amdhsa_exception_fp_ieee_underflow 0
		.amdhsa_exception_fp_ieee_inexact 0
		.amdhsa_exception_int_div_zero 0
	.end_amdhsa_kernel
	.section	.text._ZN9rocsparseL22gebsrmvn_mxn_16_kernelILj64ELj16ELj1E21rocsparse_complex_numIdEEEvi20rocsparse_direction_NS_24const_host_device_scalarIT2_EEPKiS8_PKS5_iiSA_S6_PS5_21rocsparse_index_base_b,"axG",@progbits,_ZN9rocsparseL22gebsrmvn_mxn_16_kernelILj64ELj16ELj1E21rocsparse_complex_numIdEEEvi20rocsparse_direction_NS_24const_host_device_scalarIT2_EEPKiS8_PKS5_iiSA_S6_PS5_21rocsparse_index_base_b,comdat
.Lfunc_end128:
	.size	_ZN9rocsparseL22gebsrmvn_mxn_16_kernelILj64ELj16ELj1E21rocsparse_complex_numIdEEEvi20rocsparse_direction_NS_24const_host_device_scalarIT2_EEPKiS8_PKS5_iiSA_S6_PS5_21rocsparse_index_base_b, .Lfunc_end128-_ZN9rocsparseL22gebsrmvn_mxn_16_kernelILj64ELj16ELj1E21rocsparse_complex_numIdEEEvi20rocsparse_direction_NS_24const_host_device_scalarIT2_EEPKiS8_PKS5_iiSA_S6_PS5_21rocsparse_index_base_b
                                        ; -- End function
	.set _ZN9rocsparseL22gebsrmvn_mxn_16_kernelILj64ELj16ELj1E21rocsparse_complex_numIdEEEvi20rocsparse_direction_NS_24const_host_device_scalarIT2_EEPKiS8_PKS5_iiSA_S6_PS5_21rocsparse_index_base_b.num_vgpr, 24
	.set _ZN9rocsparseL22gebsrmvn_mxn_16_kernelILj64ELj16ELj1E21rocsparse_complex_numIdEEEvi20rocsparse_direction_NS_24const_host_device_scalarIT2_EEPKiS8_PKS5_iiSA_S6_PS5_21rocsparse_index_base_b.num_agpr, 0
	.set _ZN9rocsparseL22gebsrmvn_mxn_16_kernelILj64ELj16ELj1E21rocsparse_complex_numIdEEEvi20rocsparse_direction_NS_24const_host_device_scalarIT2_EEPKiS8_PKS5_iiSA_S6_PS5_21rocsparse_index_base_b.numbered_sgpr, 16
	.set _ZN9rocsparseL22gebsrmvn_mxn_16_kernelILj64ELj16ELj1E21rocsparse_complex_numIdEEEvi20rocsparse_direction_NS_24const_host_device_scalarIT2_EEPKiS8_PKS5_iiSA_S6_PS5_21rocsparse_index_base_b.num_named_barrier, 0
	.set _ZN9rocsparseL22gebsrmvn_mxn_16_kernelILj64ELj16ELj1E21rocsparse_complex_numIdEEEvi20rocsparse_direction_NS_24const_host_device_scalarIT2_EEPKiS8_PKS5_iiSA_S6_PS5_21rocsparse_index_base_b.private_seg_size, 0
	.set _ZN9rocsparseL22gebsrmvn_mxn_16_kernelILj64ELj16ELj1E21rocsparse_complex_numIdEEEvi20rocsparse_direction_NS_24const_host_device_scalarIT2_EEPKiS8_PKS5_iiSA_S6_PS5_21rocsparse_index_base_b.uses_vcc, 1
	.set _ZN9rocsparseL22gebsrmvn_mxn_16_kernelILj64ELj16ELj1E21rocsparse_complex_numIdEEEvi20rocsparse_direction_NS_24const_host_device_scalarIT2_EEPKiS8_PKS5_iiSA_S6_PS5_21rocsparse_index_base_b.uses_flat_scratch, 0
	.set _ZN9rocsparseL22gebsrmvn_mxn_16_kernelILj64ELj16ELj1E21rocsparse_complex_numIdEEEvi20rocsparse_direction_NS_24const_host_device_scalarIT2_EEPKiS8_PKS5_iiSA_S6_PS5_21rocsparse_index_base_b.has_dyn_sized_stack, 0
	.set _ZN9rocsparseL22gebsrmvn_mxn_16_kernelILj64ELj16ELj1E21rocsparse_complex_numIdEEEvi20rocsparse_direction_NS_24const_host_device_scalarIT2_EEPKiS8_PKS5_iiSA_S6_PS5_21rocsparse_index_base_b.has_recursion, 0
	.set _ZN9rocsparseL22gebsrmvn_mxn_16_kernelILj64ELj16ELj1E21rocsparse_complex_numIdEEEvi20rocsparse_direction_NS_24const_host_device_scalarIT2_EEPKiS8_PKS5_iiSA_S6_PS5_21rocsparse_index_base_b.has_indirect_call, 0
	.section	.AMDGPU.csdata,"",@progbits
; Kernel info:
; codeLenInByte = 812
; TotalNumSgprs: 18
; NumVgprs: 24
; ScratchSize: 0
; MemoryBound: 0
; FloatMode: 240
; IeeeMode: 1
; LDSByteSize: 1024 bytes/workgroup (compile time only)
; SGPRBlocks: 0
; VGPRBlocks: 1
; NumSGPRsForWavesPerEU: 18
; NumVGPRsForWavesPerEU: 24
; NamedBarCnt: 0
; Occupancy: 16
; WaveLimiterHint : 1
; COMPUTE_PGM_RSRC2:SCRATCH_EN: 0
; COMPUTE_PGM_RSRC2:USER_SGPR: 2
; COMPUTE_PGM_RSRC2:TRAP_HANDLER: 0
; COMPUTE_PGM_RSRC2:TGID_X_EN: 1
; COMPUTE_PGM_RSRC2:TGID_Y_EN: 0
; COMPUTE_PGM_RSRC2:TGID_Z_EN: 0
; COMPUTE_PGM_RSRC2:TIDIG_COMP_CNT: 0
	.section	.text._ZN9rocsparseL22gebsrmvn_mxn_16_kernelILj64ELj16ELj2E21rocsparse_complex_numIdEEEvi20rocsparse_direction_NS_24const_host_device_scalarIT2_EEPKiS8_PKS5_iiSA_S6_PS5_21rocsparse_index_base_b,"axG",@progbits,_ZN9rocsparseL22gebsrmvn_mxn_16_kernelILj64ELj16ELj2E21rocsparse_complex_numIdEEEvi20rocsparse_direction_NS_24const_host_device_scalarIT2_EEPKiS8_PKS5_iiSA_S6_PS5_21rocsparse_index_base_b,comdat
	.globl	_ZN9rocsparseL22gebsrmvn_mxn_16_kernelILj64ELj16ELj2E21rocsparse_complex_numIdEEEvi20rocsparse_direction_NS_24const_host_device_scalarIT2_EEPKiS8_PKS5_iiSA_S6_PS5_21rocsparse_index_base_b ; -- Begin function _ZN9rocsparseL22gebsrmvn_mxn_16_kernelILj64ELj16ELj2E21rocsparse_complex_numIdEEEvi20rocsparse_direction_NS_24const_host_device_scalarIT2_EEPKiS8_PKS5_iiSA_S6_PS5_21rocsparse_index_base_b
	.p2align	8
	.type	_ZN9rocsparseL22gebsrmvn_mxn_16_kernelILj64ELj16ELj2E21rocsparse_complex_numIdEEEvi20rocsparse_direction_NS_24const_host_device_scalarIT2_EEPKiS8_PKS5_iiSA_S6_PS5_21rocsparse_index_base_b,@function
_ZN9rocsparseL22gebsrmvn_mxn_16_kernelILj64ELj16ELj2E21rocsparse_complex_numIdEEEvi20rocsparse_direction_NS_24const_host_device_scalarIT2_EEPKiS8_PKS5_iiSA_S6_PS5_21rocsparse_index_base_b: ; @_ZN9rocsparseL22gebsrmvn_mxn_16_kernelILj64ELj16ELj2E21rocsparse_complex_numIdEEEvi20rocsparse_direction_NS_24const_host_device_scalarIT2_EEPKiS8_PKS5_iiSA_S6_PS5_21rocsparse_index_base_b
; %bb.0:
	s_clause 0x1
	s_load_b64 s[10:11], s[0:1], 0x58
	s_load_b64 s[2:3], s[0:1], 0x8
	v_mov_b32_e32 v1, 0
	s_add_nc_u64 s[4:5], s[0:1], 8
	s_load_b64 s[6:7], s[0:1], 0x40
	s_wait_kmcnt 0x0
	s_bitcmp1_b32 s11, 0
	s_cselect_b32 s3, s5, s3
	s_cselect_b32 s2, s4, s2
	flat_load_b128 v[6:9], v1, s[2:3]
	s_wait_xcnt 0x0
	s_add_nc_u64 s[2:3], s[0:1], 64
	s_delay_alu instid0(SALU_CYCLE_1)
	s_cselect_b32 s3, s3, s7
	s_cselect_b32 s2, s2, s6
	flat_load_b128 v[2:5], v1, s[2:3]
	s_wait_loadcnt_dscnt 0x101
	v_cmp_eq_f64_e32 vcc_lo, 0, v[6:7]
	s_wait_xcnt 0x0
	v_cmp_eq_f64_e64 s2, 0, v[8:9]
	s_and_b32 s4, vcc_lo, s2
	s_mov_b32 s2, -1
	s_and_saveexec_b32 s3, s4
	s_cbranch_execz .LBB129_2
; %bb.1:
	s_wait_loadcnt_dscnt 0x0
	v_cmp_neq_f64_e32 vcc_lo, 1.0, v[2:3]
	v_cmp_neq_f64_e64 s2, 0, v[4:5]
	s_or_b32 s2, vcc_lo, s2
	s_delay_alu instid0(SALU_CYCLE_1)
	s_or_not1_b32 s2, s2, exec_lo
.LBB129_2:
	s_or_b32 exec_lo, exec_lo, s3
	s_and_saveexec_b32 s3, s2
	s_cbranch_execz .LBB129_27
; %bb.3:
	s_clause 0x1
	s_load_b32 s4, s[0:1], 0x4
	s_load_b64 s[2:3], s[0:1], 0x18
	s_bfe_u32 s5, ttmp6, 0x4000c
	s_and_b32 s6, ttmp6, 15
	s_add_co_i32 s5, s5, 1
	s_getreg_b32 s7, hwreg(HW_REG_IB_STS2, 6, 4)
	s_mul_i32 s5, ttmp9, s5
	v_mov_b64_e32 v[12:13], 0
	s_add_co_i32 s6, s6, s5
	s_cmp_eq_u32 s7, 0
	v_mov_b64_e32 v[10:11], 0
	s_cselect_b32 s8, ttmp9, s6
	v_and_b32_e32 v14, 1, v0
	s_wait_kmcnt 0x0
	s_cmp_eq_u32 s4, 1
	s_cselect_b32 vcc_lo, -1, 0
	s_cmp_lg_u32 s4, 1
	s_cselect_b32 s11, -1, 0
	s_ashr_i32 s9, s8, 31
	s_delay_alu instid0(SALU_CYCLE_1) | instskip(NEXT) | instid1(SALU_CYCLE_1)
	s_lshl_b64 s[4:5], s[8:9], 2
	s_add_nc_u64 s[4:5], s[2:3], s[4:5]
	s_load_b64 s[14:15], s[4:5], 0x0
	s_load_b64 s[2:3], s[0:1], 0x50
	s_wait_kmcnt 0x0
	s_cmp_ge_i32 s14, s15
	s_cbranch_scc1 .LBB129_8
; %bb.4:
	s_clause 0x1
	s_load_b128 s[4:7], s[0:1], 0x20
	s_load_b64 s[12:13], s[0:1], 0x38
	v_mov_b64_e32 v[12:13], 0
	v_lshl_add_u32 v10, s14, 5, v0
	v_bfe_u32 v1, v0, 4, 1
	s_wait_xcnt 0x0
	s_lshl_b32 s0, s10, 5
	v_lshrrev_b32_e32 v15, 5, v0
	s_sub_co_i32 s1, s14, s10
	v_subrev_nc_u32_e32 v16, s0, v10
	v_mov_b64_e32 v[10:11], v[12:13]
	v_cndmask_b32_e32 v1, v14, v1, vcc_lo
	s_sub_co_i32 s0, s15, s10
	s_branch .LBB129_6
.LBB129_5:                              ;   in Loop: Header=BB129_6 Depth=1
	s_or_b32 exec_lo, exec_lo, s9
	v_add_nc_u32_e32 v16, 64, v16
	s_add_co_i32 s1, s1, 2
	s_delay_alu instid0(SALU_CYCLE_1)
	s_cmp_ge_i32 s1, s0
	s_cbranch_scc1 .LBB129_8
.LBB129_6:                              ; =>This Inner Loop Header: Depth=1
	v_add_nc_u32_e32 v17, s1, v15
	s_mov_b32 s9, exec_lo
	s_delay_alu instid0(VALU_DEP_1)
	v_cmpx_gt_i32_e64 s0, v17
	s_cbranch_execz .LBB129_5
; %bb.7:                                ;   in Loop: Header=BB129_6 Depth=1
	s_wait_kmcnt 0x0
	global_load_b32 v17, v17, s[4:5] scale_offset
	s_wait_loadcnt 0x0
	v_subrev_nc_u32_e32 v17, s10, v17
	s_delay_alu instid0(VALU_DEP_1)
	v_lshl_or_b32 v17, v17, 1, v1
	global_load_b128 v[18:21], v16, s[6:7] scale_offset
	global_load_b128 v[22:25], v17, s[12:13] scale_offset
	s_wait_loadcnt 0x0
	v_fmac_f64_e32 v[10:11], v[18:19], v[22:23]
	v_fmac_f64_e32 v[12:13], v[20:21], v[22:23]
	s_delay_alu instid0(VALU_DEP_2) | instskip(NEXT) | instid1(VALU_DEP_2)
	v_fma_f64 v[10:11], -v[20:21], v[24:25], v[10:11]
	v_fmac_f64_e32 v[12:13], v[18:19], v[24:25]
	s_branch .LBB129_5
.LBB129_8:
	v_lshlrev_b32_e32 v1, 4, v0
	s_mov_b32 s0, exec_lo
	ds_store_b128 v1, v[10:13]
	s_wait_loadcnt_dscnt 0x0
	s_barrier_signal -1
	s_barrier_wait -1
	v_cmpx_gt_u32_e32 32, v0
	s_cbranch_execz .LBB129_10
; %bb.9:
	ds_load_b128 v[16:19], v1 offset:512
	ds_load_b128 v[20:23], v1
	s_wait_dscnt 0x0
	v_add_f64_e32 v[16:17], v[16:17], v[20:21]
	v_add_f64_e32 v[18:19], v[18:19], v[22:23]
	ds_store_b128 v1, v[16:19]
.LBB129_10:
	s_or_b32 exec_lo, exec_lo, s0
	s_delay_alu instid0(SALU_CYCLE_1)
	s_and_b32 vcc_lo, exec_lo, s11
	s_wait_dscnt 0x0
	s_barrier_signal -1
	s_barrier_wait -1
	s_cbranch_vccz .LBB129_16
; %bb.11:
	s_mov_b32 s0, exec_lo
	v_cmpx_eq_u32_e32 0, v14
	s_cbranch_execz .LBB129_13
; %bb.12:
	ds_load_b128 v[14:17], v1
	ds_load_b128 v[18:21], v1 offset:16
	s_wait_dscnt 0x0
	v_add_f64_e32 v[14:15], v[18:19], v[14:15]
	v_add_f64_e32 v[16:17], v[20:21], v[16:17]
	ds_store_b128 v1, v[14:17]
.LBB129_13:
	s_or_b32 exec_lo, exec_lo, s0
	v_mov_b64_e32 v[16:17], v[12:13]
	v_mov_b64_e32 v[14:15], v[10:11]
	s_mov_b32 s0, exec_lo
	s_wait_dscnt 0x0
	s_barrier_signal -1
	s_barrier_wait -1
	v_cmpx_gt_u32_e32 16, v0
; %bb.14:
	v_lshl_add_u32 v14, v0, 4, v1
	ds_load_b128 v[14:17], v14
; %bb.15:
	s_or_b32 exec_lo, exec_lo, s0
	s_branch .LBB129_22
.LBB129_16:
                                        ; implicit-def: $vgpr16_vgpr17
	s_cbranch_execz .LBB129_22
; %bb.17:
	s_mov_b32 s0, exec_lo
	v_cmpx_lt_u32_e32 15, v0
	s_xor_b32 s0, exec_lo, s0
	s_cbranch_execz .LBB129_19
; %bb.18:
	s_wait_dscnt 0x0
                                        ; implicit-def: $vgpr1
.LBB129_19:
	s_and_not1_saveexec_b32 s0, s0
	s_cbranch_execz .LBB129_21
; %bb.20:
	ds_load_b128 v[10:13], v1 offset:256
	s_wait_dscnt 0x1
	ds_load_b128 v[14:17], v1
	s_wait_dscnt 0x0
	v_add_f64_e32 v[10:11], v[10:11], v[14:15]
	v_add_f64_e32 v[12:13], v[12:13], v[16:17]
	ds_store_b128 v1, v[10:13]
	s_wait_dscnt 0x0
	ds_load_b128 v[10:13], v1
.LBB129_21:
	s_or_b32 exec_lo, exec_lo, s0
	s_wait_dscnt 0x0
	v_mov_b64_e32 v[14:15], v[10:11]
	v_mov_b64_e32 v[16:17], v[12:13]
.LBB129_22:
	v_cmp_gt_u32_e32 vcc_lo, 16, v0
	s_and_b32 exec_lo, exec_lo, vcc_lo
	s_cbranch_execz .LBB129_27
; %bb.23:
	s_wait_dscnt 0x0
	s_delay_alu instid0(VALU_DEP_2)
	v_mul_f64_e64 v[10:11], v[16:17], -v[8:9]
	v_mul_f64_e32 v[12:13], v[6:7], v[16:17]
	v_cmp_eq_f64_e32 vcc_lo, 0, v[2:3]
	v_cmp_eq_f64_e64 s0, 0, v[4:5]
	v_lshl_or_b32 v0, s8, 4, v0
	v_fmac_f64_e32 v[10:11], v[6:7], v[14:15]
	v_fmac_f64_e32 v[12:13], v[8:9], v[14:15]
	s_and_b32 s0, vcc_lo, s0
	s_delay_alu instid0(SALU_CYCLE_1) | instskip(NEXT) | instid1(SALU_CYCLE_1)
	s_and_saveexec_b32 s1, s0
	s_xor_b32 s0, exec_lo, s1
	s_cbranch_execz .LBB129_25
; %bb.24:
	global_store_b128 v0, v[10:13], s[2:3] scale_offset
                                        ; implicit-def: $vgpr0
                                        ; implicit-def: $vgpr2_vgpr3
                                        ; implicit-def: $vgpr10_vgpr11
.LBB129_25:
	s_wait_xcnt 0x0
	s_and_not1_saveexec_b32 s0, s0
	s_cbranch_execz .LBB129_27
; %bb.26:
	global_load_b128 v[6:9], v0, s[2:3] scale_offset
	s_wait_loadcnt 0x0
	v_fmac_f64_e32 v[10:11], v[2:3], v[6:7]
	v_fmac_f64_e32 v[12:13], v[4:5], v[6:7]
	s_delay_alu instid0(VALU_DEP_2) | instskip(NEXT) | instid1(VALU_DEP_2)
	v_fma_f64 v[10:11], -v[4:5], v[8:9], v[10:11]
	v_fmac_f64_e32 v[12:13], v[2:3], v[8:9]
	global_store_b128 v0, v[10:13], s[2:3] scale_offset
.LBB129_27:
	s_endpgm
	.section	.rodata,"a",@progbits
	.p2align	6, 0x0
	.amdhsa_kernel _ZN9rocsparseL22gebsrmvn_mxn_16_kernelILj64ELj16ELj2E21rocsparse_complex_numIdEEEvi20rocsparse_direction_NS_24const_host_device_scalarIT2_EEPKiS8_PKS5_iiSA_S6_PS5_21rocsparse_index_base_b
		.amdhsa_group_segment_fixed_size 1024
		.amdhsa_private_segment_fixed_size 0
		.amdhsa_kernarg_size 96
		.amdhsa_user_sgpr_count 2
		.amdhsa_user_sgpr_dispatch_ptr 0
		.amdhsa_user_sgpr_queue_ptr 0
		.amdhsa_user_sgpr_kernarg_segment_ptr 1
		.amdhsa_user_sgpr_dispatch_id 0
		.amdhsa_user_sgpr_kernarg_preload_length 0
		.amdhsa_user_sgpr_kernarg_preload_offset 0
		.amdhsa_user_sgpr_private_segment_size 0
		.amdhsa_wavefront_size32 1
		.amdhsa_uses_dynamic_stack 0
		.amdhsa_enable_private_segment 0
		.amdhsa_system_sgpr_workgroup_id_x 1
		.amdhsa_system_sgpr_workgroup_id_y 0
		.amdhsa_system_sgpr_workgroup_id_z 0
		.amdhsa_system_sgpr_workgroup_info 0
		.amdhsa_system_vgpr_workitem_id 0
		.amdhsa_next_free_vgpr 26
		.amdhsa_next_free_sgpr 16
		.amdhsa_named_barrier_count 0
		.amdhsa_reserve_vcc 1
		.amdhsa_float_round_mode_32 0
		.amdhsa_float_round_mode_16_64 0
		.amdhsa_float_denorm_mode_32 3
		.amdhsa_float_denorm_mode_16_64 3
		.amdhsa_fp16_overflow 0
		.amdhsa_memory_ordered 1
		.amdhsa_forward_progress 1
		.amdhsa_inst_pref_size 8
		.amdhsa_round_robin_scheduling 0
		.amdhsa_exception_fp_ieee_invalid_op 0
		.amdhsa_exception_fp_denorm_src 0
		.amdhsa_exception_fp_ieee_div_zero 0
		.amdhsa_exception_fp_ieee_overflow 0
		.amdhsa_exception_fp_ieee_underflow 0
		.amdhsa_exception_fp_ieee_inexact 0
		.amdhsa_exception_int_div_zero 0
	.end_amdhsa_kernel
	.section	.text._ZN9rocsparseL22gebsrmvn_mxn_16_kernelILj64ELj16ELj2E21rocsparse_complex_numIdEEEvi20rocsparse_direction_NS_24const_host_device_scalarIT2_EEPKiS8_PKS5_iiSA_S6_PS5_21rocsparse_index_base_b,"axG",@progbits,_ZN9rocsparseL22gebsrmvn_mxn_16_kernelILj64ELj16ELj2E21rocsparse_complex_numIdEEEvi20rocsparse_direction_NS_24const_host_device_scalarIT2_EEPKiS8_PKS5_iiSA_S6_PS5_21rocsparse_index_base_b,comdat
.Lfunc_end129:
	.size	_ZN9rocsparseL22gebsrmvn_mxn_16_kernelILj64ELj16ELj2E21rocsparse_complex_numIdEEEvi20rocsparse_direction_NS_24const_host_device_scalarIT2_EEPKiS8_PKS5_iiSA_S6_PS5_21rocsparse_index_base_b, .Lfunc_end129-_ZN9rocsparseL22gebsrmvn_mxn_16_kernelILj64ELj16ELj2E21rocsparse_complex_numIdEEEvi20rocsparse_direction_NS_24const_host_device_scalarIT2_EEPKiS8_PKS5_iiSA_S6_PS5_21rocsparse_index_base_b
                                        ; -- End function
	.set _ZN9rocsparseL22gebsrmvn_mxn_16_kernelILj64ELj16ELj2E21rocsparse_complex_numIdEEEvi20rocsparse_direction_NS_24const_host_device_scalarIT2_EEPKiS8_PKS5_iiSA_S6_PS5_21rocsparse_index_base_b.num_vgpr, 26
	.set _ZN9rocsparseL22gebsrmvn_mxn_16_kernelILj64ELj16ELj2E21rocsparse_complex_numIdEEEvi20rocsparse_direction_NS_24const_host_device_scalarIT2_EEPKiS8_PKS5_iiSA_S6_PS5_21rocsparse_index_base_b.num_agpr, 0
	.set _ZN9rocsparseL22gebsrmvn_mxn_16_kernelILj64ELj16ELj2E21rocsparse_complex_numIdEEEvi20rocsparse_direction_NS_24const_host_device_scalarIT2_EEPKiS8_PKS5_iiSA_S6_PS5_21rocsparse_index_base_b.numbered_sgpr, 16
	.set _ZN9rocsparseL22gebsrmvn_mxn_16_kernelILj64ELj16ELj2E21rocsparse_complex_numIdEEEvi20rocsparse_direction_NS_24const_host_device_scalarIT2_EEPKiS8_PKS5_iiSA_S6_PS5_21rocsparse_index_base_b.num_named_barrier, 0
	.set _ZN9rocsparseL22gebsrmvn_mxn_16_kernelILj64ELj16ELj2E21rocsparse_complex_numIdEEEvi20rocsparse_direction_NS_24const_host_device_scalarIT2_EEPKiS8_PKS5_iiSA_S6_PS5_21rocsparse_index_base_b.private_seg_size, 0
	.set _ZN9rocsparseL22gebsrmvn_mxn_16_kernelILj64ELj16ELj2E21rocsparse_complex_numIdEEEvi20rocsparse_direction_NS_24const_host_device_scalarIT2_EEPKiS8_PKS5_iiSA_S6_PS5_21rocsparse_index_base_b.uses_vcc, 1
	.set _ZN9rocsparseL22gebsrmvn_mxn_16_kernelILj64ELj16ELj2E21rocsparse_complex_numIdEEEvi20rocsparse_direction_NS_24const_host_device_scalarIT2_EEPKiS8_PKS5_iiSA_S6_PS5_21rocsparse_index_base_b.uses_flat_scratch, 0
	.set _ZN9rocsparseL22gebsrmvn_mxn_16_kernelILj64ELj16ELj2E21rocsparse_complex_numIdEEEvi20rocsparse_direction_NS_24const_host_device_scalarIT2_EEPKiS8_PKS5_iiSA_S6_PS5_21rocsparse_index_base_b.has_dyn_sized_stack, 0
	.set _ZN9rocsparseL22gebsrmvn_mxn_16_kernelILj64ELj16ELj2E21rocsparse_complex_numIdEEEvi20rocsparse_direction_NS_24const_host_device_scalarIT2_EEPKiS8_PKS5_iiSA_S6_PS5_21rocsparse_index_base_b.has_recursion, 0
	.set _ZN9rocsparseL22gebsrmvn_mxn_16_kernelILj64ELj16ELj2E21rocsparse_complex_numIdEEEvi20rocsparse_direction_NS_24const_host_device_scalarIT2_EEPKiS8_PKS5_iiSA_S6_PS5_21rocsparse_index_base_b.has_indirect_call, 0
	.section	.AMDGPU.csdata,"",@progbits
; Kernel info:
; codeLenInByte = 984
; TotalNumSgprs: 18
; NumVgprs: 26
; ScratchSize: 0
; MemoryBound: 0
; FloatMode: 240
; IeeeMode: 1
; LDSByteSize: 1024 bytes/workgroup (compile time only)
; SGPRBlocks: 0
; VGPRBlocks: 1
; NumSGPRsForWavesPerEU: 18
; NumVGPRsForWavesPerEU: 26
; NamedBarCnt: 0
; Occupancy: 16
; WaveLimiterHint : 1
; COMPUTE_PGM_RSRC2:SCRATCH_EN: 0
; COMPUTE_PGM_RSRC2:USER_SGPR: 2
; COMPUTE_PGM_RSRC2:TRAP_HANDLER: 0
; COMPUTE_PGM_RSRC2:TGID_X_EN: 1
; COMPUTE_PGM_RSRC2:TGID_Y_EN: 0
; COMPUTE_PGM_RSRC2:TGID_Z_EN: 0
; COMPUTE_PGM_RSRC2:TIDIG_COMP_CNT: 0
	.section	.text._ZN9rocsparseL22gebsrmvn_mxn_16_kernelILj48ELj16ELj3E21rocsparse_complex_numIdEEEvi20rocsparse_direction_NS_24const_host_device_scalarIT2_EEPKiS8_PKS5_iiSA_S6_PS5_21rocsparse_index_base_b,"axG",@progbits,_ZN9rocsparseL22gebsrmvn_mxn_16_kernelILj48ELj16ELj3E21rocsparse_complex_numIdEEEvi20rocsparse_direction_NS_24const_host_device_scalarIT2_EEPKiS8_PKS5_iiSA_S6_PS5_21rocsparse_index_base_b,comdat
	.globl	_ZN9rocsparseL22gebsrmvn_mxn_16_kernelILj48ELj16ELj3E21rocsparse_complex_numIdEEEvi20rocsparse_direction_NS_24const_host_device_scalarIT2_EEPKiS8_PKS5_iiSA_S6_PS5_21rocsparse_index_base_b ; -- Begin function _ZN9rocsparseL22gebsrmvn_mxn_16_kernelILj48ELj16ELj3E21rocsparse_complex_numIdEEEvi20rocsparse_direction_NS_24const_host_device_scalarIT2_EEPKiS8_PKS5_iiSA_S6_PS5_21rocsparse_index_base_b
	.p2align	8
	.type	_ZN9rocsparseL22gebsrmvn_mxn_16_kernelILj48ELj16ELj3E21rocsparse_complex_numIdEEEvi20rocsparse_direction_NS_24const_host_device_scalarIT2_EEPKiS8_PKS5_iiSA_S6_PS5_21rocsparse_index_base_b,@function
_ZN9rocsparseL22gebsrmvn_mxn_16_kernelILj48ELj16ELj3E21rocsparse_complex_numIdEEEvi20rocsparse_direction_NS_24const_host_device_scalarIT2_EEPKiS8_PKS5_iiSA_S6_PS5_21rocsparse_index_base_b: ; @_ZN9rocsparseL22gebsrmvn_mxn_16_kernelILj48ELj16ELj3E21rocsparse_complex_numIdEEEvi20rocsparse_direction_NS_24const_host_device_scalarIT2_EEPKiS8_PKS5_iiSA_S6_PS5_21rocsparse_index_base_b
; %bb.0:
	s_clause 0x1
	s_load_b64 s[10:11], s[0:1], 0x58
	s_load_b64 s[2:3], s[0:1], 0x8
	v_mov_b32_e32 v1, 0
	s_add_nc_u64 s[4:5], s[0:1], 8
	s_load_b64 s[6:7], s[0:1], 0x40
	s_wait_kmcnt 0x0
	s_bitcmp1_b32 s11, 0
	s_cselect_b32 s3, s5, s3
	s_cselect_b32 s2, s4, s2
	flat_load_b128 v[6:9], v1, s[2:3]
	s_wait_xcnt 0x0
	s_add_nc_u64 s[2:3], s[0:1], 64
	s_delay_alu instid0(SALU_CYCLE_1)
	s_cselect_b32 s3, s3, s7
	s_cselect_b32 s2, s2, s6
	flat_load_b128 v[2:5], v1, s[2:3]
	s_wait_loadcnt_dscnt 0x101
	v_cmp_eq_f64_e32 vcc_lo, 0, v[6:7]
	s_wait_xcnt 0x0
	v_cmp_eq_f64_e64 s2, 0, v[8:9]
	s_and_b32 s4, vcc_lo, s2
	s_mov_b32 s2, -1
	s_and_saveexec_b32 s3, s4
	s_cbranch_execz .LBB130_2
; %bb.1:
	s_wait_loadcnt_dscnt 0x0
	v_cmp_neq_f64_e32 vcc_lo, 1.0, v[2:3]
	v_cmp_neq_f64_e64 s2, 0, v[4:5]
	s_or_b32 s2, vcc_lo, s2
	s_delay_alu instid0(SALU_CYCLE_1)
	s_or_not1_b32 s2, s2, exec_lo
.LBB130_2:
	s_or_b32 exec_lo, exec_lo, s3
	s_and_saveexec_b32 s3, s2
	s_cbranch_execz .LBB130_29
; %bb.3:
	s_clause 0x1
	s_load_b32 s4, s[0:1], 0x4
	s_load_b64 s[2:3], s[0:1], 0x18
	s_bfe_u32 s5, ttmp6, 0x4000c
	s_and_b32 s6, ttmp6, 15
	s_add_co_i32 s5, s5, 1
	s_getreg_b32 s7, hwreg(HW_REG_IB_STS2, 6, 4)
	s_mul_i32 s5, ttmp9, s5
	v_mul_u32_u24_e32 v1, 0x5556, v0
	s_add_co_i32 s6, s6, s5
	s_cmp_eq_u32 s7, 0
	v_mov_b64_e32 v[12:13], 0
	s_cselect_b32 s8, ttmp9, s6
	v_lshrrev_b32_e32 v1, 16, v1
	v_mov_b64_e32 v[10:11], 0
	s_delay_alu instid0(VALU_DEP_2) | instskip(SKIP_2) | instid1(VALU_DEP_1)
	v_mul_lo_u16 v1, v1, 3
	s_wait_kmcnt 0x0
	s_cmp_eq_u32 s4, 1
	v_sub_nc_u16 v14, v0, v1
	s_cselect_b32 vcc_lo, -1, 0
	s_cmp_lg_u32 s4, 1
	s_cselect_b32 s11, -1, 0
	s_ashr_i32 s9, s8, 31
	s_delay_alu instid0(SALU_CYCLE_1) | instskip(NEXT) | instid1(SALU_CYCLE_1)
	s_lshl_b64 s[4:5], s[8:9], 2
	s_add_nc_u64 s[4:5], s[2:3], s[4:5]
	s_load_b64 s[14:15], s[4:5], 0x0
	s_load_b64 s[2:3], s[0:1], 0x50
	s_wait_kmcnt 0x0
	s_cmp_ge_i32 s14, s15
	s_cbranch_scc1 .LBB130_8
; %bb.4:
	v_lshrrev_b32_e32 v1, 4, v0
	s_clause 0x1
	s_load_b128 s[4:7], s[0:1], 0x20
	s_load_b64 s[12:13], s[0:1], 0x38
	v_and_b32_e32 v11, 0xffff, v0
	v_mad_u32 v15, s14, 48, v0
	v_mov_b64_e32 v[12:13], 0
	v_mul_lo_u16 v10, 0x56, v1
	s_wait_xcnt 0x0
	s_mul_i32 s0, s10, 48
	v_mul_u32_u24_e32 v11, 0x556, v11
	s_sub_co_i32 s1, s14, s10
	v_lshrrev_b16 v10, 8, v10
	v_subrev_nc_u32_e32 v15, s0, v15
	s_delay_alu instid0(VALU_DEP_2) | instskip(SKIP_1) | instid1(VALU_DEP_1)
	v_mul_lo_u16 v10, v10, 3
	s_sub_co_i32 s0, s15, s10
	v_sub_nc_u16 v1, v1, v10
	v_and_b32_e32 v10, 0xffff, v14
	s_delay_alu instid0(VALU_DEP_2) | instskip(NEXT) | instid1(VALU_DEP_1)
	v_and_b32_e32 v16, 0xff, v1
	v_dual_cndmask_b32 v16, v10, v16 :: v_dual_lshrrev_b32 v1, 16, v11
	v_mov_b64_e32 v[10:11], v[12:13]
	s_branch .LBB130_6
.LBB130_5:                              ;   in Loop: Header=BB130_6 Depth=1
	s_or_b32 exec_lo, exec_lo, s9
	v_add_nc_u32_e32 v15, 48, v15
	s_add_co_i32 s1, s1, 1
	s_delay_alu instid0(SALU_CYCLE_1)
	s_cmp_ge_i32 s1, s0
	s_cbranch_scc1 .LBB130_8
.LBB130_6:                              ; =>This Inner Loop Header: Depth=1
	s_delay_alu instid0(VALU_DEP_2) | instskip(SKIP_1) | instid1(VALU_DEP_1)
	v_add_nc_u32_e32 v17, s1, v1
	s_mov_b32 s9, exec_lo
	v_cmpx_gt_i32_e64 s0, v17
	s_cbranch_execz .LBB130_5
; %bb.7:                                ;   in Loop: Header=BB130_6 Depth=1
	s_wait_kmcnt 0x0
	global_load_b32 v17, v17, s[4:5] scale_offset
	s_wait_loadcnt 0x0
	v_subrev_nc_u32_e32 v17, s10, v17
	s_delay_alu instid0(VALU_DEP_1)
	v_mad_u32 v17, v17, 3, v16
	global_load_b128 v[18:21], v15, s[6:7] scale_offset
	global_load_b128 v[22:25], v17, s[12:13] scale_offset
	s_wait_loadcnt 0x0
	v_fmac_f64_e32 v[10:11], v[18:19], v[22:23]
	v_fmac_f64_e32 v[12:13], v[20:21], v[22:23]
	s_delay_alu instid0(VALU_DEP_2) | instskip(NEXT) | instid1(VALU_DEP_2)
	v_fma_f64 v[10:11], -v[20:21], v[24:25], v[10:11]
	v_fmac_f64_e32 v[12:13], v[18:19], v[24:25]
	s_branch .LBB130_5
.LBB130_8:
	v_lshlrev_b32_e32 v1, 4, v0
	s_and_b32 vcc_lo, exec_lo, s11
	ds_store_b128 v1, v[10:13]
	s_wait_loadcnt_dscnt 0x0
	s_barrier_signal -1
	s_barrier_wait -1
	s_cbranch_vccz .LBB130_16
; %bb.9:
	v_cmp_eq_u16_e32 vcc_lo, 0, v14
	s_and_saveexec_b32 s0, vcc_lo
	s_cbranch_execz .LBB130_11
; %bb.10:
	ds_load_b128 v[14:17], v1
	ds_load_b128 v[18:21], v1 offset:32
	s_wait_dscnt 0x0
	v_add_f64_e32 v[14:15], v[18:19], v[14:15]
	v_add_f64_e32 v[16:17], v[20:21], v[16:17]
	ds_store_b128 v1, v[14:17]
.LBB130_11:
	s_or_b32 exec_lo, exec_lo, s0
	s_wait_dscnt 0x0
	s_barrier_signal -1
	s_barrier_wait -1
	s_and_saveexec_b32 s0, vcc_lo
	s_cbranch_execz .LBB130_13
; %bb.12:
	ds_load_b128 v[14:17], v1
	ds_load_b128 v[18:21], v1 offset:16
	s_wait_dscnt 0x0
	v_add_f64_e32 v[14:15], v[18:19], v[14:15]
	v_add_f64_e32 v[16:17], v[20:21], v[16:17]
	ds_store_b128 v1, v[14:17]
.LBB130_13:
	s_or_b32 exec_lo, exec_lo, s0
	v_mov_b64_e32 v[16:17], v[12:13]
	v_mov_b64_e32 v[14:15], v[10:11]
	s_mov_b32 s0, exec_lo
	s_wait_dscnt 0x0
	s_barrier_signal -1
	s_barrier_wait -1
	v_cmpx_gt_u32_e32 16, v0
; %bb.14:
	v_lshl_add_u32 v14, v0, 5, v1
	ds_load_b128 v[14:17], v14
; %bb.15:
	s_or_b32 exec_lo, exec_lo, s0
	v_cmp_gt_u32_e64 s0, 16, v0
	s_branch .LBB130_24
.LBB130_16:
                                        ; implicit-def: $vgpr16_vgpr17
	v_cmp_gt_u32_e64 s0, 16, v0
	s_cbranch_execz .LBB130_24
; %bb.17:
	v_cmp_lt_u32_e32 vcc_lo, 15, v0
	s_and_saveexec_b32 s1, s0
	s_cbranch_execz .LBB130_19
; %bb.18:
	s_wait_dscnt 0x0
	ds_load_b128 v[14:17], v1 offset:512
	ds_load_b128 v[18:21], v1
	s_wait_dscnt 0x0
	v_add_f64_e32 v[14:15], v[14:15], v[18:19]
	v_add_f64_e32 v[16:17], v[16:17], v[20:21]
	ds_store_b128 v1, v[14:17]
.LBB130_19:
	s_or_b32 exec_lo, exec_lo, s1
	s_wait_dscnt 0x0
	s_barrier_signal -1
	s_barrier_wait -1
	s_and_saveexec_b32 s0, vcc_lo
	s_delay_alu instid0(SALU_CYCLE_1)
	s_xor_b32 s0, exec_lo, s0
; %bb.20:
                                        ; implicit-def: $vgpr1
; %bb.21:
	s_delay_alu instid0(SALU_CYCLE_1)
	s_and_not1_saveexec_b32 s0, s0
	s_cbranch_execz .LBB130_23
; %bb.22:
	ds_load_b128 v[10:13], v1 offset:256
	ds_load_b128 v[14:17], v1
	s_wait_dscnt 0x0
	v_add_f64_e32 v[10:11], v[10:11], v[14:15]
	v_add_f64_e32 v[12:13], v[12:13], v[16:17]
	ds_store_b128 v1, v[10:13]
	s_wait_dscnt 0x0
	ds_load_b128 v[10:13], v1
.LBB130_23:
	s_or_b32 exec_lo, exec_lo, s0
	s_wait_dscnt 0x0
	v_mov_b64_e32 v[16:17], v[12:13]
	v_mov_b64_e32 v[14:15], v[10:11]
.LBB130_24:
	v_cmp_gt_u32_e32 vcc_lo, 16, v0
	s_and_b32 exec_lo, exec_lo, vcc_lo
	s_cbranch_execz .LBB130_29
; %bb.25:
	s_wait_dscnt 0x0
	s_delay_alu instid0(VALU_DEP_3)
	v_mul_f64_e64 v[10:11], v[16:17], -v[8:9]
	v_mul_f64_e32 v[12:13], v[6:7], v[16:17]
	v_cmp_eq_f64_e32 vcc_lo, 0, v[2:3]
	v_cmp_eq_f64_e64 s0, 0, v[4:5]
	v_lshl_or_b32 v0, s8, 4, v0
	v_fmac_f64_e32 v[10:11], v[6:7], v[14:15]
	v_fmac_f64_e32 v[12:13], v[8:9], v[14:15]
	s_and_b32 s0, vcc_lo, s0
	s_delay_alu instid0(SALU_CYCLE_1) | instskip(NEXT) | instid1(SALU_CYCLE_1)
	s_and_saveexec_b32 s1, s0
	s_xor_b32 s0, exec_lo, s1
	s_cbranch_execz .LBB130_27
; %bb.26:
	global_store_b128 v0, v[10:13], s[2:3] scale_offset
                                        ; implicit-def: $vgpr0
                                        ; implicit-def: $vgpr2_vgpr3
                                        ; implicit-def: $vgpr10_vgpr11
.LBB130_27:
	s_wait_xcnt 0x0
	s_and_not1_saveexec_b32 s0, s0
	s_cbranch_execz .LBB130_29
; %bb.28:
	global_load_b128 v[6:9], v0, s[2:3] scale_offset
	s_wait_loadcnt 0x0
	v_fmac_f64_e32 v[10:11], v[2:3], v[6:7]
	v_fmac_f64_e32 v[12:13], v[4:5], v[6:7]
	s_delay_alu instid0(VALU_DEP_2) | instskip(NEXT) | instid1(VALU_DEP_2)
	v_fma_f64 v[10:11], -v[4:5], v[8:9], v[10:11]
	v_fmac_f64_e32 v[12:13], v[2:3], v[8:9]
	global_store_b128 v0, v[10:13], s[2:3] scale_offset
.LBB130_29:
	s_endpgm
	.section	.rodata,"a",@progbits
	.p2align	6, 0x0
	.amdhsa_kernel _ZN9rocsparseL22gebsrmvn_mxn_16_kernelILj48ELj16ELj3E21rocsparse_complex_numIdEEEvi20rocsparse_direction_NS_24const_host_device_scalarIT2_EEPKiS8_PKS5_iiSA_S6_PS5_21rocsparse_index_base_b
		.amdhsa_group_segment_fixed_size 768
		.amdhsa_private_segment_fixed_size 0
		.amdhsa_kernarg_size 96
		.amdhsa_user_sgpr_count 2
		.amdhsa_user_sgpr_dispatch_ptr 0
		.amdhsa_user_sgpr_queue_ptr 0
		.amdhsa_user_sgpr_kernarg_segment_ptr 1
		.amdhsa_user_sgpr_dispatch_id 0
		.amdhsa_user_sgpr_kernarg_preload_length 0
		.amdhsa_user_sgpr_kernarg_preload_offset 0
		.amdhsa_user_sgpr_private_segment_size 0
		.amdhsa_wavefront_size32 1
		.amdhsa_uses_dynamic_stack 0
		.amdhsa_enable_private_segment 0
		.amdhsa_system_sgpr_workgroup_id_x 1
		.amdhsa_system_sgpr_workgroup_id_y 0
		.amdhsa_system_sgpr_workgroup_id_z 0
		.amdhsa_system_sgpr_workgroup_info 0
		.amdhsa_system_vgpr_workitem_id 0
		.amdhsa_next_free_vgpr 26
		.amdhsa_next_free_sgpr 16
		.amdhsa_named_barrier_count 0
		.amdhsa_reserve_vcc 1
		.amdhsa_float_round_mode_32 0
		.amdhsa_float_round_mode_16_64 0
		.amdhsa_float_denorm_mode_32 3
		.amdhsa_float_denorm_mode_16_64 3
		.amdhsa_fp16_overflow 0
		.amdhsa_memory_ordered 1
		.amdhsa_forward_progress 1
		.amdhsa_inst_pref_size 9
		.amdhsa_round_robin_scheduling 0
		.amdhsa_exception_fp_ieee_invalid_op 0
		.amdhsa_exception_fp_denorm_src 0
		.amdhsa_exception_fp_ieee_div_zero 0
		.amdhsa_exception_fp_ieee_overflow 0
		.amdhsa_exception_fp_ieee_underflow 0
		.amdhsa_exception_fp_ieee_inexact 0
		.amdhsa_exception_int_div_zero 0
	.end_amdhsa_kernel
	.section	.text._ZN9rocsparseL22gebsrmvn_mxn_16_kernelILj48ELj16ELj3E21rocsparse_complex_numIdEEEvi20rocsparse_direction_NS_24const_host_device_scalarIT2_EEPKiS8_PKS5_iiSA_S6_PS5_21rocsparse_index_base_b,"axG",@progbits,_ZN9rocsparseL22gebsrmvn_mxn_16_kernelILj48ELj16ELj3E21rocsparse_complex_numIdEEEvi20rocsparse_direction_NS_24const_host_device_scalarIT2_EEPKiS8_PKS5_iiSA_S6_PS5_21rocsparse_index_base_b,comdat
.Lfunc_end130:
	.size	_ZN9rocsparseL22gebsrmvn_mxn_16_kernelILj48ELj16ELj3E21rocsparse_complex_numIdEEEvi20rocsparse_direction_NS_24const_host_device_scalarIT2_EEPKiS8_PKS5_iiSA_S6_PS5_21rocsparse_index_base_b, .Lfunc_end130-_ZN9rocsparseL22gebsrmvn_mxn_16_kernelILj48ELj16ELj3E21rocsparse_complex_numIdEEEvi20rocsparse_direction_NS_24const_host_device_scalarIT2_EEPKiS8_PKS5_iiSA_S6_PS5_21rocsparse_index_base_b
                                        ; -- End function
	.set _ZN9rocsparseL22gebsrmvn_mxn_16_kernelILj48ELj16ELj3E21rocsparse_complex_numIdEEEvi20rocsparse_direction_NS_24const_host_device_scalarIT2_EEPKiS8_PKS5_iiSA_S6_PS5_21rocsparse_index_base_b.num_vgpr, 26
	.set _ZN9rocsparseL22gebsrmvn_mxn_16_kernelILj48ELj16ELj3E21rocsparse_complex_numIdEEEvi20rocsparse_direction_NS_24const_host_device_scalarIT2_EEPKiS8_PKS5_iiSA_S6_PS5_21rocsparse_index_base_b.num_agpr, 0
	.set _ZN9rocsparseL22gebsrmvn_mxn_16_kernelILj48ELj16ELj3E21rocsparse_complex_numIdEEEvi20rocsparse_direction_NS_24const_host_device_scalarIT2_EEPKiS8_PKS5_iiSA_S6_PS5_21rocsparse_index_base_b.numbered_sgpr, 16
	.set _ZN9rocsparseL22gebsrmvn_mxn_16_kernelILj48ELj16ELj3E21rocsparse_complex_numIdEEEvi20rocsparse_direction_NS_24const_host_device_scalarIT2_EEPKiS8_PKS5_iiSA_S6_PS5_21rocsparse_index_base_b.num_named_barrier, 0
	.set _ZN9rocsparseL22gebsrmvn_mxn_16_kernelILj48ELj16ELj3E21rocsparse_complex_numIdEEEvi20rocsparse_direction_NS_24const_host_device_scalarIT2_EEPKiS8_PKS5_iiSA_S6_PS5_21rocsparse_index_base_b.private_seg_size, 0
	.set _ZN9rocsparseL22gebsrmvn_mxn_16_kernelILj48ELj16ELj3E21rocsparse_complex_numIdEEEvi20rocsparse_direction_NS_24const_host_device_scalarIT2_EEPKiS8_PKS5_iiSA_S6_PS5_21rocsparse_index_base_b.uses_vcc, 1
	.set _ZN9rocsparseL22gebsrmvn_mxn_16_kernelILj48ELj16ELj3E21rocsparse_complex_numIdEEEvi20rocsparse_direction_NS_24const_host_device_scalarIT2_EEPKiS8_PKS5_iiSA_S6_PS5_21rocsparse_index_base_b.uses_flat_scratch, 0
	.set _ZN9rocsparseL22gebsrmvn_mxn_16_kernelILj48ELj16ELj3E21rocsparse_complex_numIdEEEvi20rocsparse_direction_NS_24const_host_device_scalarIT2_EEPKiS8_PKS5_iiSA_S6_PS5_21rocsparse_index_base_b.has_dyn_sized_stack, 0
	.set _ZN9rocsparseL22gebsrmvn_mxn_16_kernelILj48ELj16ELj3E21rocsparse_complex_numIdEEEvi20rocsparse_direction_NS_24const_host_device_scalarIT2_EEPKiS8_PKS5_iiSA_S6_PS5_21rocsparse_index_base_b.has_recursion, 0
	.set _ZN9rocsparseL22gebsrmvn_mxn_16_kernelILj48ELj16ELj3E21rocsparse_complex_numIdEEEvi20rocsparse_direction_NS_24const_host_device_scalarIT2_EEPKiS8_PKS5_iiSA_S6_PS5_21rocsparse_index_base_b.has_indirect_call, 0
	.section	.AMDGPU.csdata,"",@progbits
; Kernel info:
; codeLenInByte = 1152
; TotalNumSgprs: 18
; NumVgprs: 26
; ScratchSize: 0
; MemoryBound: 0
; FloatMode: 240
; IeeeMode: 1
; LDSByteSize: 768 bytes/workgroup (compile time only)
; SGPRBlocks: 0
; VGPRBlocks: 1
; NumSGPRsForWavesPerEU: 18
; NumVGPRsForWavesPerEU: 26
; NamedBarCnt: 0
; Occupancy: 16
; WaveLimiterHint : 1
; COMPUTE_PGM_RSRC2:SCRATCH_EN: 0
; COMPUTE_PGM_RSRC2:USER_SGPR: 2
; COMPUTE_PGM_RSRC2:TRAP_HANDLER: 0
; COMPUTE_PGM_RSRC2:TGID_X_EN: 1
; COMPUTE_PGM_RSRC2:TGID_Y_EN: 0
; COMPUTE_PGM_RSRC2:TGID_Z_EN: 0
; COMPUTE_PGM_RSRC2:TIDIG_COMP_CNT: 0
	.section	.text._ZN9rocsparseL22gebsrmvn_mxn_16_kernelILj64ELj16ELj4E21rocsparse_complex_numIdEEEvi20rocsparse_direction_NS_24const_host_device_scalarIT2_EEPKiS8_PKS5_iiSA_S6_PS5_21rocsparse_index_base_b,"axG",@progbits,_ZN9rocsparseL22gebsrmvn_mxn_16_kernelILj64ELj16ELj4E21rocsparse_complex_numIdEEEvi20rocsparse_direction_NS_24const_host_device_scalarIT2_EEPKiS8_PKS5_iiSA_S6_PS5_21rocsparse_index_base_b,comdat
	.globl	_ZN9rocsparseL22gebsrmvn_mxn_16_kernelILj64ELj16ELj4E21rocsparse_complex_numIdEEEvi20rocsparse_direction_NS_24const_host_device_scalarIT2_EEPKiS8_PKS5_iiSA_S6_PS5_21rocsparse_index_base_b ; -- Begin function _ZN9rocsparseL22gebsrmvn_mxn_16_kernelILj64ELj16ELj4E21rocsparse_complex_numIdEEEvi20rocsparse_direction_NS_24const_host_device_scalarIT2_EEPKiS8_PKS5_iiSA_S6_PS5_21rocsparse_index_base_b
	.p2align	8
	.type	_ZN9rocsparseL22gebsrmvn_mxn_16_kernelILj64ELj16ELj4E21rocsparse_complex_numIdEEEvi20rocsparse_direction_NS_24const_host_device_scalarIT2_EEPKiS8_PKS5_iiSA_S6_PS5_21rocsparse_index_base_b,@function
_ZN9rocsparseL22gebsrmvn_mxn_16_kernelILj64ELj16ELj4E21rocsparse_complex_numIdEEEvi20rocsparse_direction_NS_24const_host_device_scalarIT2_EEPKiS8_PKS5_iiSA_S6_PS5_21rocsparse_index_base_b: ; @_ZN9rocsparseL22gebsrmvn_mxn_16_kernelILj64ELj16ELj4E21rocsparse_complex_numIdEEEvi20rocsparse_direction_NS_24const_host_device_scalarIT2_EEPKiS8_PKS5_iiSA_S6_PS5_21rocsparse_index_base_b
; %bb.0:
	s_clause 0x1
	s_load_b64 s[10:11], s[0:1], 0x58
	s_load_b64 s[2:3], s[0:1], 0x8
	v_mov_b32_e32 v1, 0
	s_add_nc_u64 s[4:5], s[0:1], 8
	s_load_b64 s[6:7], s[0:1], 0x40
	s_wait_kmcnt 0x0
	s_bitcmp1_b32 s11, 0
	s_cselect_b32 s3, s5, s3
	s_cselect_b32 s2, s4, s2
	flat_load_b128 v[6:9], v1, s[2:3]
	s_wait_xcnt 0x0
	s_add_nc_u64 s[2:3], s[0:1], 64
	s_delay_alu instid0(SALU_CYCLE_1)
	s_cselect_b32 s3, s3, s7
	s_cselect_b32 s2, s2, s6
	flat_load_b128 v[2:5], v1, s[2:3]
	s_wait_loadcnt_dscnt 0x101
	v_cmp_eq_f64_e32 vcc_lo, 0, v[6:7]
	s_wait_xcnt 0x0
	v_cmp_eq_f64_e64 s2, 0, v[8:9]
	s_and_b32 s4, vcc_lo, s2
	s_mov_b32 s2, -1
	s_and_saveexec_b32 s3, s4
	s_cbranch_execz .LBB131_2
; %bb.1:
	s_wait_loadcnt_dscnt 0x0
	v_cmp_neq_f64_e32 vcc_lo, 1.0, v[2:3]
	v_cmp_neq_f64_e64 s2, 0, v[4:5]
	s_or_b32 s2, vcc_lo, s2
	s_delay_alu instid0(SALU_CYCLE_1)
	s_or_not1_b32 s2, s2, exec_lo
.LBB131_2:
	s_or_b32 exec_lo, exec_lo, s3
	s_and_saveexec_b32 s3, s2
	s_cbranch_execz .LBB131_29
; %bb.3:
	s_clause 0x1
	s_load_b32 s4, s[0:1], 0x4
	s_load_b64 s[2:3], s[0:1], 0x18
	s_bfe_u32 s5, ttmp6, 0x4000c
	s_and_b32 s6, ttmp6, 15
	s_add_co_i32 s5, s5, 1
	s_getreg_b32 s7, hwreg(HW_REG_IB_STS2, 6, 4)
	s_mul_i32 s5, ttmp9, s5
	v_mov_b64_e32 v[12:13], 0
	s_add_co_i32 s6, s6, s5
	s_cmp_eq_u32 s7, 0
	v_mov_b64_e32 v[10:11], 0
	s_cselect_b32 s8, ttmp9, s6
	v_and_b32_e32 v14, 3, v0
	s_wait_kmcnt 0x0
	s_cmp_eq_u32 s4, 1
	s_cselect_b32 vcc_lo, -1, 0
	s_cmp_lg_u32 s4, 1
	s_cselect_b32 s11, -1, 0
	s_ashr_i32 s9, s8, 31
	s_delay_alu instid0(SALU_CYCLE_1) | instskip(NEXT) | instid1(SALU_CYCLE_1)
	s_lshl_b64 s[4:5], s[8:9], 2
	s_add_nc_u64 s[4:5], s[2:3], s[4:5]
	s_load_b64 s[14:15], s[4:5], 0x0
	s_load_b64 s[2:3], s[0:1], 0x50
	s_wait_kmcnt 0x0
	s_cmp_ge_i32 s14, s15
	s_cbranch_scc1 .LBB131_8
; %bb.4:
	s_clause 0x1
	s_load_b128 s[4:7], s[0:1], 0x20
	s_load_b64 s[12:13], s[0:1], 0x38
	v_mov_b64_e32 v[12:13], 0
	v_lshl_or_b32 v10, s14, 6, v0
	v_lshrrev_b32_e32 v1, 4, v0
	s_wait_xcnt 0x0
	s_lshl_b32 s0, s10, 6
	s_sub_co_i32 s1, s14, s10
	v_subrev_nc_u32_e32 v15, s0, v10
	v_mov_b64_e32 v[10:11], v[12:13]
	v_cndmask_b32_e32 v1, v14, v1, vcc_lo
	s_sub_co_i32 s0, s15, s10
	s_branch .LBB131_6
.LBB131_5:                              ;   in Loop: Header=BB131_6 Depth=1
	s_or_b32 exec_lo, exec_lo, s9
	v_add_nc_u32_e32 v15, 64, v15
	s_add_co_i32 s1, s1, 1
	s_delay_alu instid0(SALU_CYCLE_1)
	s_cmp_ge_i32 s1, s0
	s_cbranch_scc1 .LBB131_8
.LBB131_6:                              ; =>This Inner Loop Header: Depth=1
	s_cmp_lt_i32 s1, s0
	s_cselect_b32 s14, -1, 0
	s_delay_alu instid0(SALU_CYCLE_1)
	s_and_saveexec_b32 s9, s14
	s_cbranch_execz .LBB131_5
; %bb.7:                                ;   in Loop: Header=BB131_6 Depth=1
	v_mov_b32_e32 v16, s1
	s_wait_kmcnt 0x0
	global_load_b32 v16, v16, s[4:5] scale_offset
	s_wait_loadcnt 0x0
	v_subrev_nc_u32_e32 v16, s10, v16
	s_delay_alu instid0(VALU_DEP_1)
	v_lshl_or_b32 v24, v16, 2, v1
	global_load_b128 v[16:19], v15, s[6:7] scale_offset
	global_load_b128 v[20:23], v24, s[12:13] scale_offset
	s_wait_loadcnt 0x0
	v_fmac_f64_e32 v[10:11], v[16:17], v[20:21]
	v_fmac_f64_e32 v[12:13], v[18:19], v[20:21]
	s_delay_alu instid0(VALU_DEP_2) | instskip(NEXT) | instid1(VALU_DEP_2)
	v_fma_f64 v[10:11], -v[18:19], v[22:23], v[10:11]
	v_fmac_f64_e32 v[12:13], v[16:17], v[22:23]
	s_branch .LBB131_5
.LBB131_8:
	v_lshlrev_b32_e32 v1, 4, v0
	s_and_b32 vcc_lo, exec_lo, s11
	ds_store_b128 v1, v[10:13]
	s_wait_loadcnt_dscnt 0x0
	s_barrier_signal -1
	s_barrier_wait -1
	s_cbranch_vccz .LBB131_16
; %bb.9:
	s_mov_b32 s0, exec_lo
	v_cmpx_gt_u32_e32 2, v14
	s_cbranch_execz .LBB131_11
; %bb.10:
	ds_load_b128 v[16:19], v1
	ds_load_b128 v[20:23], v1 offset:32
	s_wait_dscnt 0x0
	v_add_f64_e32 v[16:17], v[20:21], v[16:17]
	v_add_f64_e32 v[18:19], v[22:23], v[18:19]
	ds_store_b128 v1, v[16:19]
.LBB131_11:
	s_or_b32 exec_lo, exec_lo, s0
	s_delay_alu instid0(SALU_CYCLE_1)
	s_mov_b32 s0, exec_lo
	s_wait_dscnt 0x0
	s_barrier_signal -1
	s_barrier_wait -1
	v_cmpx_eq_u32_e32 0, v14
	s_cbranch_execz .LBB131_13
; %bb.12:
	ds_load_b128 v[14:17], v1
	ds_load_b128 v[18:21], v1 offset:16
	s_wait_dscnt 0x0
	v_add_f64_e32 v[14:15], v[18:19], v[14:15]
	v_add_f64_e32 v[16:17], v[20:21], v[16:17]
	ds_store_b128 v1, v[14:17]
.LBB131_13:
	s_or_b32 exec_lo, exec_lo, s0
	v_mov_b64_e32 v[16:17], v[12:13]
	v_mov_b64_e32 v[14:15], v[10:11]
	s_mov_b32 s0, exec_lo
	s_wait_dscnt 0x0
	s_barrier_signal -1
	s_barrier_wait -1
	v_cmpx_gt_u32_e32 16, v0
; %bb.14:
	v_mad_u32_u24 v14, v0, 48, v1
	ds_load_b128 v[14:17], v14
; %bb.15:
	s_or_b32 exec_lo, exec_lo, s0
	s_branch .LBB131_24
.LBB131_16:
                                        ; implicit-def: $vgpr16_vgpr17
	s_cbranch_execz .LBB131_24
; %bb.17:
	s_mov_b32 s0, exec_lo
	v_cmpx_gt_u32_e32 32, v0
	s_cbranch_execz .LBB131_19
; %bb.18:
	s_wait_dscnt 0x0
	ds_load_b128 v[14:17], v1 offset:512
	ds_load_b128 v[18:21], v1
	s_wait_dscnt 0x0
	v_add_f64_e32 v[14:15], v[14:15], v[18:19]
	v_add_f64_e32 v[16:17], v[16:17], v[20:21]
	ds_store_b128 v1, v[14:17]
.LBB131_19:
	s_or_b32 exec_lo, exec_lo, s0
	s_delay_alu instid0(SALU_CYCLE_1)
	s_mov_b32 s0, exec_lo
	s_wait_dscnt 0x0
	v_cmpx_lt_u32_e32 15, v0
	s_xor_b32 s0, exec_lo, s0
; %bb.20:
                                        ; implicit-def: $vgpr1
; %bb.21:
	s_delay_alu instid0(SALU_CYCLE_1)
	s_and_not1_saveexec_b32 s0, s0
	s_cbranch_execz .LBB131_23
; %bb.22:
	ds_load_b128 v[10:13], v1 offset:256
	ds_load_b128 v[14:17], v1
	s_wait_dscnt 0x0
	v_add_f64_e32 v[10:11], v[10:11], v[14:15]
	v_add_f64_e32 v[12:13], v[12:13], v[16:17]
	ds_store_b128 v1, v[10:13]
	s_wait_dscnt 0x0
	ds_load_b128 v[10:13], v1
.LBB131_23:
	s_or_b32 exec_lo, exec_lo, s0
	s_wait_dscnt 0x0
	v_mov_b64_e32 v[16:17], v[12:13]
	v_mov_b64_e32 v[14:15], v[10:11]
.LBB131_24:
	v_cmp_gt_u32_e32 vcc_lo, 16, v0
	s_and_b32 exec_lo, exec_lo, vcc_lo
	s_cbranch_execz .LBB131_29
; %bb.25:
	s_wait_dscnt 0x0
	s_delay_alu instid0(VALU_DEP_3)
	v_mul_f64_e64 v[10:11], v[16:17], -v[8:9]
	v_mul_f64_e32 v[12:13], v[6:7], v[16:17]
	v_cmp_eq_f64_e32 vcc_lo, 0, v[2:3]
	v_cmp_eq_f64_e64 s0, 0, v[4:5]
	v_lshl_or_b32 v0, s8, 4, v0
	v_fmac_f64_e32 v[10:11], v[6:7], v[14:15]
	v_fmac_f64_e32 v[12:13], v[8:9], v[14:15]
	s_and_b32 s0, vcc_lo, s0
	s_delay_alu instid0(SALU_CYCLE_1) | instskip(NEXT) | instid1(SALU_CYCLE_1)
	s_and_saveexec_b32 s1, s0
	s_xor_b32 s0, exec_lo, s1
	s_cbranch_execz .LBB131_27
; %bb.26:
	global_store_b128 v0, v[10:13], s[2:3] scale_offset
                                        ; implicit-def: $vgpr0
                                        ; implicit-def: $vgpr2_vgpr3
                                        ; implicit-def: $vgpr10_vgpr11
.LBB131_27:
	s_wait_xcnt 0x0
	s_and_not1_saveexec_b32 s0, s0
	s_cbranch_execz .LBB131_29
; %bb.28:
	global_load_b128 v[6:9], v0, s[2:3] scale_offset
	s_wait_loadcnt 0x0
	v_fmac_f64_e32 v[10:11], v[2:3], v[6:7]
	v_fmac_f64_e32 v[12:13], v[4:5], v[6:7]
	s_delay_alu instid0(VALU_DEP_2) | instskip(NEXT) | instid1(VALU_DEP_2)
	v_fma_f64 v[10:11], -v[4:5], v[8:9], v[10:11]
	v_fmac_f64_e32 v[12:13], v[2:3], v[8:9]
	global_store_b128 v0, v[10:13], s[2:3] scale_offset
.LBB131_29:
	s_endpgm
	.section	.rodata,"a",@progbits
	.p2align	6, 0x0
	.amdhsa_kernel _ZN9rocsparseL22gebsrmvn_mxn_16_kernelILj64ELj16ELj4E21rocsparse_complex_numIdEEEvi20rocsparse_direction_NS_24const_host_device_scalarIT2_EEPKiS8_PKS5_iiSA_S6_PS5_21rocsparse_index_base_b
		.amdhsa_group_segment_fixed_size 1024
		.amdhsa_private_segment_fixed_size 0
		.amdhsa_kernarg_size 96
		.amdhsa_user_sgpr_count 2
		.amdhsa_user_sgpr_dispatch_ptr 0
		.amdhsa_user_sgpr_queue_ptr 0
		.amdhsa_user_sgpr_kernarg_segment_ptr 1
		.amdhsa_user_sgpr_dispatch_id 0
		.amdhsa_user_sgpr_kernarg_preload_length 0
		.amdhsa_user_sgpr_kernarg_preload_offset 0
		.amdhsa_user_sgpr_private_segment_size 0
		.amdhsa_wavefront_size32 1
		.amdhsa_uses_dynamic_stack 0
		.amdhsa_enable_private_segment 0
		.amdhsa_system_sgpr_workgroup_id_x 1
		.amdhsa_system_sgpr_workgroup_id_y 0
		.amdhsa_system_sgpr_workgroup_id_z 0
		.amdhsa_system_sgpr_workgroup_info 0
		.amdhsa_system_vgpr_workitem_id 0
		.amdhsa_next_free_vgpr 25
		.amdhsa_next_free_sgpr 16
		.amdhsa_named_barrier_count 0
		.amdhsa_reserve_vcc 1
		.amdhsa_float_round_mode_32 0
		.amdhsa_float_round_mode_16_64 0
		.amdhsa_float_denorm_mode_32 3
		.amdhsa_float_denorm_mode_16_64 3
		.amdhsa_fp16_overflow 0
		.amdhsa_memory_ordered 1
		.amdhsa_forward_progress 1
		.amdhsa_inst_pref_size 9
		.amdhsa_round_robin_scheduling 0
		.amdhsa_exception_fp_ieee_invalid_op 0
		.amdhsa_exception_fp_denorm_src 0
		.amdhsa_exception_fp_ieee_div_zero 0
		.amdhsa_exception_fp_ieee_overflow 0
		.amdhsa_exception_fp_ieee_underflow 0
		.amdhsa_exception_fp_ieee_inexact 0
		.amdhsa_exception_int_div_zero 0
	.end_amdhsa_kernel
	.section	.text._ZN9rocsparseL22gebsrmvn_mxn_16_kernelILj64ELj16ELj4E21rocsparse_complex_numIdEEEvi20rocsparse_direction_NS_24const_host_device_scalarIT2_EEPKiS8_PKS5_iiSA_S6_PS5_21rocsparse_index_base_b,"axG",@progbits,_ZN9rocsparseL22gebsrmvn_mxn_16_kernelILj64ELj16ELj4E21rocsparse_complex_numIdEEEvi20rocsparse_direction_NS_24const_host_device_scalarIT2_EEPKiS8_PKS5_iiSA_S6_PS5_21rocsparse_index_base_b,comdat
.Lfunc_end131:
	.size	_ZN9rocsparseL22gebsrmvn_mxn_16_kernelILj64ELj16ELj4E21rocsparse_complex_numIdEEEvi20rocsparse_direction_NS_24const_host_device_scalarIT2_EEPKiS8_PKS5_iiSA_S6_PS5_21rocsparse_index_base_b, .Lfunc_end131-_ZN9rocsparseL22gebsrmvn_mxn_16_kernelILj64ELj16ELj4E21rocsparse_complex_numIdEEEvi20rocsparse_direction_NS_24const_host_device_scalarIT2_EEPKiS8_PKS5_iiSA_S6_PS5_21rocsparse_index_base_b
                                        ; -- End function
	.set _ZN9rocsparseL22gebsrmvn_mxn_16_kernelILj64ELj16ELj4E21rocsparse_complex_numIdEEEvi20rocsparse_direction_NS_24const_host_device_scalarIT2_EEPKiS8_PKS5_iiSA_S6_PS5_21rocsparse_index_base_b.num_vgpr, 25
	.set _ZN9rocsparseL22gebsrmvn_mxn_16_kernelILj64ELj16ELj4E21rocsparse_complex_numIdEEEvi20rocsparse_direction_NS_24const_host_device_scalarIT2_EEPKiS8_PKS5_iiSA_S6_PS5_21rocsparse_index_base_b.num_agpr, 0
	.set _ZN9rocsparseL22gebsrmvn_mxn_16_kernelILj64ELj16ELj4E21rocsparse_complex_numIdEEEvi20rocsparse_direction_NS_24const_host_device_scalarIT2_EEPKiS8_PKS5_iiSA_S6_PS5_21rocsparse_index_base_b.numbered_sgpr, 16
	.set _ZN9rocsparseL22gebsrmvn_mxn_16_kernelILj64ELj16ELj4E21rocsparse_complex_numIdEEEvi20rocsparse_direction_NS_24const_host_device_scalarIT2_EEPKiS8_PKS5_iiSA_S6_PS5_21rocsparse_index_base_b.num_named_barrier, 0
	.set _ZN9rocsparseL22gebsrmvn_mxn_16_kernelILj64ELj16ELj4E21rocsparse_complex_numIdEEEvi20rocsparse_direction_NS_24const_host_device_scalarIT2_EEPKiS8_PKS5_iiSA_S6_PS5_21rocsparse_index_base_b.private_seg_size, 0
	.set _ZN9rocsparseL22gebsrmvn_mxn_16_kernelILj64ELj16ELj4E21rocsparse_complex_numIdEEEvi20rocsparse_direction_NS_24const_host_device_scalarIT2_EEPKiS8_PKS5_iiSA_S6_PS5_21rocsparse_index_base_b.uses_vcc, 1
	.set _ZN9rocsparseL22gebsrmvn_mxn_16_kernelILj64ELj16ELj4E21rocsparse_complex_numIdEEEvi20rocsparse_direction_NS_24const_host_device_scalarIT2_EEPKiS8_PKS5_iiSA_S6_PS5_21rocsparse_index_base_b.uses_flat_scratch, 0
	.set _ZN9rocsparseL22gebsrmvn_mxn_16_kernelILj64ELj16ELj4E21rocsparse_complex_numIdEEEvi20rocsparse_direction_NS_24const_host_device_scalarIT2_EEPKiS8_PKS5_iiSA_S6_PS5_21rocsparse_index_base_b.has_dyn_sized_stack, 0
	.set _ZN9rocsparseL22gebsrmvn_mxn_16_kernelILj64ELj16ELj4E21rocsparse_complex_numIdEEEvi20rocsparse_direction_NS_24const_host_device_scalarIT2_EEPKiS8_PKS5_iiSA_S6_PS5_21rocsparse_index_base_b.has_recursion, 0
	.set _ZN9rocsparseL22gebsrmvn_mxn_16_kernelILj64ELj16ELj4E21rocsparse_complex_numIdEEEvi20rocsparse_direction_NS_24const_host_device_scalarIT2_EEPKiS8_PKS5_iiSA_S6_PS5_21rocsparse_index_base_b.has_indirect_call, 0
	.section	.AMDGPU.csdata,"",@progbits
; Kernel info:
; codeLenInByte = 1032
; TotalNumSgprs: 18
; NumVgprs: 25
; ScratchSize: 0
; MemoryBound: 0
; FloatMode: 240
; IeeeMode: 1
; LDSByteSize: 1024 bytes/workgroup (compile time only)
; SGPRBlocks: 0
; VGPRBlocks: 1
; NumSGPRsForWavesPerEU: 18
; NumVGPRsForWavesPerEU: 25
; NamedBarCnt: 0
; Occupancy: 16
; WaveLimiterHint : 1
; COMPUTE_PGM_RSRC2:SCRATCH_EN: 0
; COMPUTE_PGM_RSRC2:USER_SGPR: 2
; COMPUTE_PGM_RSRC2:TRAP_HANDLER: 0
; COMPUTE_PGM_RSRC2:TGID_X_EN: 1
; COMPUTE_PGM_RSRC2:TGID_Y_EN: 0
; COMPUTE_PGM_RSRC2:TGID_Z_EN: 0
; COMPUTE_PGM_RSRC2:TIDIG_COMP_CNT: 0
	.section	.text._ZN9rocsparseL22gebsrmvn_mxn_16_kernelILj80ELj16ELj5E21rocsparse_complex_numIdEEEvi20rocsparse_direction_NS_24const_host_device_scalarIT2_EEPKiS8_PKS5_iiSA_S6_PS5_21rocsparse_index_base_b,"axG",@progbits,_ZN9rocsparseL22gebsrmvn_mxn_16_kernelILj80ELj16ELj5E21rocsparse_complex_numIdEEEvi20rocsparse_direction_NS_24const_host_device_scalarIT2_EEPKiS8_PKS5_iiSA_S6_PS5_21rocsparse_index_base_b,comdat
	.globl	_ZN9rocsparseL22gebsrmvn_mxn_16_kernelILj80ELj16ELj5E21rocsparse_complex_numIdEEEvi20rocsparse_direction_NS_24const_host_device_scalarIT2_EEPKiS8_PKS5_iiSA_S6_PS5_21rocsparse_index_base_b ; -- Begin function _ZN9rocsparseL22gebsrmvn_mxn_16_kernelILj80ELj16ELj5E21rocsparse_complex_numIdEEEvi20rocsparse_direction_NS_24const_host_device_scalarIT2_EEPKiS8_PKS5_iiSA_S6_PS5_21rocsparse_index_base_b
	.p2align	8
	.type	_ZN9rocsparseL22gebsrmvn_mxn_16_kernelILj80ELj16ELj5E21rocsparse_complex_numIdEEEvi20rocsparse_direction_NS_24const_host_device_scalarIT2_EEPKiS8_PKS5_iiSA_S6_PS5_21rocsparse_index_base_b,@function
_ZN9rocsparseL22gebsrmvn_mxn_16_kernelILj80ELj16ELj5E21rocsparse_complex_numIdEEEvi20rocsparse_direction_NS_24const_host_device_scalarIT2_EEPKiS8_PKS5_iiSA_S6_PS5_21rocsparse_index_base_b: ; @_ZN9rocsparseL22gebsrmvn_mxn_16_kernelILj80ELj16ELj5E21rocsparse_complex_numIdEEEvi20rocsparse_direction_NS_24const_host_device_scalarIT2_EEPKiS8_PKS5_iiSA_S6_PS5_21rocsparse_index_base_b
; %bb.0:
	s_clause 0x1
	s_load_b64 s[10:11], s[0:1], 0x58
	s_load_b64 s[2:3], s[0:1], 0x8
	v_mov_b32_e32 v1, 0
	s_add_nc_u64 s[4:5], s[0:1], 8
	s_load_b64 s[6:7], s[0:1], 0x40
	s_wait_kmcnt 0x0
	s_bitcmp1_b32 s11, 0
	s_cselect_b32 s3, s5, s3
	s_cselect_b32 s2, s4, s2
	flat_load_b128 v[6:9], v1, s[2:3]
	s_wait_xcnt 0x0
	s_add_nc_u64 s[2:3], s[0:1], 64
	s_delay_alu instid0(SALU_CYCLE_1)
	s_cselect_b32 s3, s3, s7
	s_cselect_b32 s2, s2, s6
	flat_load_b128 v[2:5], v1, s[2:3]
	s_wait_loadcnt_dscnt 0x101
	v_cmp_eq_f64_e32 vcc_lo, 0, v[6:7]
	s_wait_xcnt 0x0
	v_cmp_eq_f64_e64 s2, 0, v[8:9]
	s_and_b32 s4, vcc_lo, s2
	s_mov_b32 s2, -1
	s_and_saveexec_b32 s3, s4
	s_cbranch_execz .LBB132_2
; %bb.1:
	s_wait_loadcnt_dscnt 0x0
	v_cmp_neq_f64_e32 vcc_lo, 1.0, v[2:3]
	v_cmp_neq_f64_e64 s2, 0, v[4:5]
	s_or_b32 s2, vcc_lo, s2
	s_delay_alu instid0(SALU_CYCLE_1)
	s_or_not1_b32 s2, s2, exec_lo
.LBB132_2:
	s_or_b32 exec_lo, exec_lo, s3
	s_and_saveexec_b32 s3, s2
	s_cbranch_execz .LBB132_33
; %bb.3:
	s_clause 0x1
	s_load_b32 s4, s[0:1], 0x4
	s_load_b64 s[2:3], s[0:1], 0x18
	s_bfe_u32 s5, ttmp6, 0x4000c
	s_and_b32 s6, ttmp6, 15
	s_add_co_i32 s5, s5, 1
	s_getreg_b32 s7, hwreg(HW_REG_IB_STS2, 6, 4)
	s_mul_i32 s5, ttmp9, s5
	v_mul_u32_u24_e32 v1, 0x3334, v0
	s_add_co_i32 s6, s6, s5
	s_cmp_eq_u32 s7, 0
	v_mov_b64_e32 v[12:13], 0
	s_cselect_b32 s8, ttmp9, s6
	v_lshrrev_b32_e32 v1, 16, v1
	v_mov_b64_e32 v[10:11], 0
	s_delay_alu instid0(VALU_DEP_2) | instskip(SKIP_2) | instid1(VALU_DEP_1)
	v_mul_lo_u16 v1, v1, 5
	s_wait_kmcnt 0x0
	s_cmp_eq_u32 s4, 1
	v_sub_nc_u16 v14, v0, v1
	s_cselect_b32 vcc_lo, -1, 0
	s_cmp_lg_u32 s4, 1
	s_cselect_b32 s11, -1, 0
	s_ashr_i32 s9, s8, 31
	s_delay_alu instid0(SALU_CYCLE_1) | instskip(NEXT) | instid1(SALU_CYCLE_1)
	s_lshl_b64 s[4:5], s[8:9], 2
	s_add_nc_u64 s[4:5], s[2:3], s[4:5]
	s_load_b64 s[14:15], s[4:5], 0x0
	s_load_b64 s[2:3], s[0:1], 0x50
	s_wait_kmcnt 0x0
	s_cmp_ge_i32 s14, s15
	s_cbranch_scc1 .LBB132_8
; %bb.4:
	v_lshrrev_b32_e32 v1, 4, v0
	s_clause 0x1
	s_load_b128 s[4:7], s[0:1], 0x20
	s_load_b64 s[12:13], s[0:1], 0x38
	v_and_b32_e32 v11, 0xffff, v0
	v_mad_u32 v15, 0x50, s14, v0
	v_mov_b64_e32 v[12:13], 0
	v_mul_lo_u16 v10, v1, 52
	s_wait_xcnt 0x0
	s_mul_i32 s0, s10, 0x50
	v_mul_u32_u24_e32 v11, 0x334, v11
	s_sub_co_i32 s1, s14, s10
	v_lshrrev_b16 v10, 8, v10
	v_subrev_nc_u32_e32 v15, s0, v15
	s_delay_alu instid0(VALU_DEP_2) | instskip(SKIP_1) | instid1(VALU_DEP_1)
	v_mul_lo_u16 v10, v10, 5
	s_sub_co_i32 s0, s15, s10
	v_sub_nc_u16 v1, v1, v10
	v_and_b32_e32 v10, 0xffff, v14
	s_delay_alu instid0(VALU_DEP_2) | instskip(NEXT) | instid1(VALU_DEP_1)
	v_and_b32_e32 v16, 0xff, v1
	v_dual_cndmask_b32 v16, v10, v16 :: v_dual_lshrrev_b32 v1, 16, v11
	v_mov_b64_e32 v[10:11], v[12:13]
	s_branch .LBB132_6
.LBB132_5:                              ;   in Loop: Header=BB132_6 Depth=1
	s_or_b32 exec_lo, exec_lo, s9
	v_add_nc_u32_e32 v15, 0x50, v15
	s_add_co_i32 s1, s1, 1
	s_delay_alu instid0(SALU_CYCLE_1)
	s_cmp_ge_i32 s1, s0
	s_cbranch_scc1 .LBB132_8
.LBB132_6:                              ; =>This Inner Loop Header: Depth=1
	s_delay_alu instid0(VALU_DEP_2) | instskip(SKIP_1) | instid1(VALU_DEP_1)
	v_add_nc_u32_e32 v17, s1, v1
	s_mov_b32 s9, exec_lo
	v_cmpx_gt_i32_e64 s0, v17
	s_cbranch_execz .LBB132_5
; %bb.7:                                ;   in Loop: Header=BB132_6 Depth=1
	s_wait_kmcnt 0x0
	global_load_b32 v17, v17, s[4:5] scale_offset
	s_wait_loadcnt 0x0
	v_subrev_nc_u32_e32 v17, s10, v17
	s_delay_alu instid0(VALU_DEP_1)
	v_mad_u32 v17, v17, 5, v16
	global_load_b128 v[18:21], v15, s[6:7] scale_offset
	global_load_b128 v[22:25], v17, s[12:13] scale_offset
	s_wait_loadcnt 0x0
	v_fmac_f64_e32 v[10:11], v[18:19], v[22:23]
	v_fmac_f64_e32 v[12:13], v[20:21], v[22:23]
	s_delay_alu instid0(VALU_DEP_2) | instskip(NEXT) | instid1(VALU_DEP_2)
	v_fma_f64 v[10:11], -v[20:21], v[24:25], v[10:11]
	v_fmac_f64_e32 v[12:13], v[18:19], v[24:25]
	s_branch .LBB132_5
.LBB132_8:
	v_lshlrev_b32_e32 v1, 4, v0
	s_and_b32 vcc_lo, exec_lo, s11
	ds_store_b128 v1, v[10:13]
	s_wait_loadcnt_dscnt 0x0
	s_barrier_signal -1
	s_barrier_wait -1
	s_cbranch_vccz .LBB132_18
; %bb.9:
	v_cmp_eq_u16_e32 vcc_lo, 0, v14
	s_and_saveexec_b32 s0, vcc_lo
	s_cbranch_execz .LBB132_11
; %bb.10:
	ds_load_b128 v[16:19], v1 offset:64
	ds_load_b128 v[20:23], v1
	s_wait_dscnt 0x0
	v_add_f64_e32 v[16:17], v[16:17], v[20:21]
	v_add_f64_e32 v[18:19], v[18:19], v[22:23]
	ds_store_b128 v1, v[16:19]
.LBB132_11:
	s_or_b32 exec_lo, exec_lo, s0
	s_delay_alu instid0(SALU_CYCLE_1)
	s_mov_b32 s1, exec_lo
	s_wait_dscnt 0x0
	s_barrier_signal -1
	s_barrier_wait -1
	v_cmpx_gt_u16_e32 2, v14
	s_cbranch_execz .LBB132_13
; %bb.12:
	ds_load_b128 v[14:17], v1
	ds_load_b128 v[18:21], v1 offset:32
	s_wait_dscnt 0x0
	v_add_f64_e32 v[14:15], v[18:19], v[14:15]
	v_add_f64_e32 v[16:17], v[20:21], v[16:17]
	ds_store_b128 v1, v[14:17]
.LBB132_13:
	s_or_b32 exec_lo, exec_lo, s1
	s_wait_dscnt 0x0
	s_barrier_signal -1
	s_barrier_wait -1
	s_and_saveexec_b32 s0, vcc_lo
	s_cbranch_execz .LBB132_15
; %bb.14:
	ds_load_b128 v[14:17], v1
	ds_load_b128 v[18:21], v1 offset:16
	s_wait_dscnt 0x0
	v_add_f64_e32 v[14:15], v[18:19], v[14:15]
	v_add_f64_e32 v[16:17], v[20:21], v[16:17]
	ds_store_b128 v1, v[14:17]
.LBB132_15:
	s_or_b32 exec_lo, exec_lo, s0
	v_mov_b64_e32 v[16:17], v[12:13]
	v_mov_b64_e32 v[14:15], v[10:11]
	s_mov_b32 s0, exec_lo
	s_wait_dscnt 0x0
	s_barrier_signal -1
	s_barrier_wait -1
	v_cmpx_gt_u32_e32 16, v0
; %bb.16:
	v_lshl_add_u32 v14, v0, 6, v1
	ds_load_b128 v[14:17], v14
; %bb.17:
	s_or_b32 exec_lo, exec_lo, s0
	v_cmp_gt_u32_e64 s0, 16, v0
	s_branch .LBB132_28
.LBB132_18:
                                        ; implicit-def: $vgpr16_vgpr17
	v_cmp_gt_u32_e64 s0, 16, v0
	s_cbranch_execz .LBB132_28
; %bb.19:
	v_cmp_lt_u32_e32 vcc_lo, 15, v0
	s_and_saveexec_b32 s1, s0
	s_cbranch_execz .LBB132_21
; %bb.20:
	s_wait_dscnt 0x0
	ds_load_b128 v[14:17], v1 offset:1024
	ds_load_b128 v[18:21], v1
	s_wait_dscnt 0x0
	v_add_f64_e32 v[14:15], v[14:15], v[18:19]
	v_add_f64_e32 v[16:17], v[16:17], v[20:21]
	ds_store_b128 v1, v[14:17]
.LBB132_21:
	s_or_b32 exec_lo, exec_lo, s1
	s_delay_alu instid0(SALU_CYCLE_1)
	s_mov_b32 s1, exec_lo
	s_wait_dscnt 0x0
	s_barrier_signal -1
	s_barrier_wait -1
	v_cmpx_gt_u32_e32 32, v0
	s_cbranch_execz .LBB132_23
; %bb.22:
	ds_load_b128 v[14:17], v1 offset:512
	ds_load_b128 v[18:21], v1
	s_wait_dscnt 0x0
	v_add_f64_e32 v[14:15], v[14:15], v[18:19]
	v_add_f64_e32 v[16:17], v[16:17], v[20:21]
	ds_store_b128 v1, v[14:17]
.LBB132_23:
	s_or_b32 exec_lo, exec_lo, s1
	s_wait_dscnt 0x0
	s_and_saveexec_b32 s0, vcc_lo
	s_delay_alu instid0(SALU_CYCLE_1)
	s_xor_b32 s0, exec_lo, s0
; %bb.24:
                                        ; implicit-def: $vgpr1
; %bb.25:
	s_delay_alu instid0(SALU_CYCLE_1)
	s_and_not1_saveexec_b32 s0, s0
	s_cbranch_execz .LBB132_27
; %bb.26:
	ds_load_b128 v[10:13], v1 offset:256
	ds_load_b128 v[14:17], v1
	s_wait_dscnt 0x0
	v_add_f64_e32 v[10:11], v[10:11], v[14:15]
	v_add_f64_e32 v[12:13], v[12:13], v[16:17]
	ds_store_b128 v1, v[10:13]
	s_wait_dscnt 0x0
	ds_load_b128 v[10:13], v1
.LBB132_27:
	s_or_b32 exec_lo, exec_lo, s0
	s_wait_dscnt 0x0
	v_mov_b64_e32 v[16:17], v[12:13]
	v_mov_b64_e32 v[14:15], v[10:11]
.LBB132_28:
	v_cmp_gt_u32_e32 vcc_lo, 16, v0
	s_and_b32 exec_lo, exec_lo, vcc_lo
	s_cbranch_execz .LBB132_33
; %bb.29:
	s_wait_dscnt 0x0
	s_delay_alu instid0(VALU_DEP_3)
	v_mul_f64_e64 v[10:11], v[16:17], -v[8:9]
	v_mul_f64_e32 v[12:13], v[6:7], v[16:17]
	v_cmp_eq_f64_e32 vcc_lo, 0, v[2:3]
	v_cmp_eq_f64_e64 s0, 0, v[4:5]
	v_lshl_or_b32 v0, s8, 4, v0
	v_fmac_f64_e32 v[10:11], v[6:7], v[14:15]
	v_fmac_f64_e32 v[12:13], v[8:9], v[14:15]
	s_and_b32 s0, vcc_lo, s0
	s_delay_alu instid0(SALU_CYCLE_1) | instskip(NEXT) | instid1(SALU_CYCLE_1)
	s_and_saveexec_b32 s1, s0
	s_xor_b32 s0, exec_lo, s1
	s_cbranch_execz .LBB132_31
; %bb.30:
	global_store_b128 v0, v[10:13], s[2:3] scale_offset
                                        ; implicit-def: $vgpr0
                                        ; implicit-def: $vgpr2_vgpr3
                                        ; implicit-def: $vgpr10_vgpr11
.LBB132_31:
	s_wait_xcnt 0x0
	s_and_not1_saveexec_b32 s0, s0
	s_cbranch_execz .LBB132_33
; %bb.32:
	global_load_b128 v[6:9], v0, s[2:3] scale_offset
	s_wait_loadcnt 0x0
	v_fmac_f64_e32 v[10:11], v[2:3], v[6:7]
	v_fmac_f64_e32 v[12:13], v[4:5], v[6:7]
	s_delay_alu instid0(VALU_DEP_2) | instskip(NEXT) | instid1(VALU_DEP_2)
	v_fma_f64 v[10:11], -v[4:5], v[8:9], v[10:11]
	v_fmac_f64_e32 v[12:13], v[2:3], v[8:9]
	global_store_b128 v0, v[10:13], s[2:3] scale_offset
.LBB132_33:
	s_endpgm
	.section	.rodata,"a",@progbits
	.p2align	6, 0x0
	.amdhsa_kernel _ZN9rocsparseL22gebsrmvn_mxn_16_kernelILj80ELj16ELj5E21rocsparse_complex_numIdEEEvi20rocsparse_direction_NS_24const_host_device_scalarIT2_EEPKiS8_PKS5_iiSA_S6_PS5_21rocsparse_index_base_b
		.amdhsa_group_segment_fixed_size 1280
		.amdhsa_private_segment_fixed_size 0
		.amdhsa_kernarg_size 96
		.amdhsa_user_sgpr_count 2
		.amdhsa_user_sgpr_dispatch_ptr 0
		.amdhsa_user_sgpr_queue_ptr 0
		.amdhsa_user_sgpr_kernarg_segment_ptr 1
		.amdhsa_user_sgpr_dispatch_id 0
		.amdhsa_user_sgpr_kernarg_preload_length 0
		.amdhsa_user_sgpr_kernarg_preload_offset 0
		.amdhsa_user_sgpr_private_segment_size 0
		.amdhsa_wavefront_size32 1
		.amdhsa_uses_dynamic_stack 0
		.amdhsa_enable_private_segment 0
		.amdhsa_system_sgpr_workgroup_id_x 1
		.amdhsa_system_sgpr_workgroup_id_y 0
		.amdhsa_system_sgpr_workgroup_id_z 0
		.amdhsa_system_sgpr_workgroup_info 0
		.amdhsa_system_vgpr_workitem_id 0
		.amdhsa_next_free_vgpr 26
		.amdhsa_next_free_sgpr 16
		.amdhsa_named_barrier_count 0
		.amdhsa_reserve_vcc 1
		.amdhsa_float_round_mode_32 0
		.amdhsa_float_round_mode_16_64 0
		.amdhsa_float_denorm_mode_32 3
		.amdhsa_float_denorm_mode_16_64 3
		.amdhsa_fp16_overflow 0
		.amdhsa_memory_ordered 1
		.amdhsa_forward_progress 1
		.amdhsa_inst_pref_size 11
		.amdhsa_round_robin_scheduling 0
		.amdhsa_exception_fp_ieee_invalid_op 0
		.amdhsa_exception_fp_denorm_src 0
		.amdhsa_exception_fp_ieee_div_zero 0
		.amdhsa_exception_fp_ieee_overflow 0
		.amdhsa_exception_fp_ieee_underflow 0
		.amdhsa_exception_fp_ieee_inexact 0
		.amdhsa_exception_int_div_zero 0
	.end_amdhsa_kernel
	.section	.text._ZN9rocsparseL22gebsrmvn_mxn_16_kernelILj80ELj16ELj5E21rocsparse_complex_numIdEEEvi20rocsparse_direction_NS_24const_host_device_scalarIT2_EEPKiS8_PKS5_iiSA_S6_PS5_21rocsparse_index_base_b,"axG",@progbits,_ZN9rocsparseL22gebsrmvn_mxn_16_kernelILj80ELj16ELj5E21rocsparse_complex_numIdEEEvi20rocsparse_direction_NS_24const_host_device_scalarIT2_EEPKiS8_PKS5_iiSA_S6_PS5_21rocsparse_index_base_b,comdat
.Lfunc_end132:
	.size	_ZN9rocsparseL22gebsrmvn_mxn_16_kernelILj80ELj16ELj5E21rocsparse_complex_numIdEEEvi20rocsparse_direction_NS_24const_host_device_scalarIT2_EEPKiS8_PKS5_iiSA_S6_PS5_21rocsparse_index_base_b, .Lfunc_end132-_ZN9rocsparseL22gebsrmvn_mxn_16_kernelILj80ELj16ELj5E21rocsparse_complex_numIdEEEvi20rocsparse_direction_NS_24const_host_device_scalarIT2_EEPKiS8_PKS5_iiSA_S6_PS5_21rocsparse_index_base_b
                                        ; -- End function
	.set _ZN9rocsparseL22gebsrmvn_mxn_16_kernelILj80ELj16ELj5E21rocsparse_complex_numIdEEEvi20rocsparse_direction_NS_24const_host_device_scalarIT2_EEPKiS8_PKS5_iiSA_S6_PS5_21rocsparse_index_base_b.num_vgpr, 26
	.set _ZN9rocsparseL22gebsrmvn_mxn_16_kernelILj80ELj16ELj5E21rocsparse_complex_numIdEEEvi20rocsparse_direction_NS_24const_host_device_scalarIT2_EEPKiS8_PKS5_iiSA_S6_PS5_21rocsparse_index_base_b.num_agpr, 0
	.set _ZN9rocsparseL22gebsrmvn_mxn_16_kernelILj80ELj16ELj5E21rocsparse_complex_numIdEEEvi20rocsparse_direction_NS_24const_host_device_scalarIT2_EEPKiS8_PKS5_iiSA_S6_PS5_21rocsparse_index_base_b.numbered_sgpr, 16
	.set _ZN9rocsparseL22gebsrmvn_mxn_16_kernelILj80ELj16ELj5E21rocsparse_complex_numIdEEEvi20rocsparse_direction_NS_24const_host_device_scalarIT2_EEPKiS8_PKS5_iiSA_S6_PS5_21rocsparse_index_base_b.num_named_barrier, 0
	.set _ZN9rocsparseL22gebsrmvn_mxn_16_kernelILj80ELj16ELj5E21rocsparse_complex_numIdEEEvi20rocsparse_direction_NS_24const_host_device_scalarIT2_EEPKiS8_PKS5_iiSA_S6_PS5_21rocsparse_index_base_b.private_seg_size, 0
	.set _ZN9rocsparseL22gebsrmvn_mxn_16_kernelILj80ELj16ELj5E21rocsparse_complex_numIdEEEvi20rocsparse_direction_NS_24const_host_device_scalarIT2_EEPKiS8_PKS5_iiSA_S6_PS5_21rocsparse_index_base_b.uses_vcc, 1
	.set _ZN9rocsparseL22gebsrmvn_mxn_16_kernelILj80ELj16ELj5E21rocsparse_complex_numIdEEEvi20rocsparse_direction_NS_24const_host_device_scalarIT2_EEPKiS8_PKS5_iiSA_S6_PS5_21rocsparse_index_base_b.uses_flat_scratch, 0
	.set _ZN9rocsparseL22gebsrmvn_mxn_16_kernelILj80ELj16ELj5E21rocsparse_complex_numIdEEEvi20rocsparse_direction_NS_24const_host_device_scalarIT2_EEPKiS8_PKS5_iiSA_S6_PS5_21rocsparse_index_base_b.has_dyn_sized_stack, 0
	.set _ZN9rocsparseL22gebsrmvn_mxn_16_kernelILj80ELj16ELj5E21rocsparse_complex_numIdEEEvi20rocsparse_direction_NS_24const_host_device_scalarIT2_EEPKiS8_PKS5_iiSA_S6_PS5_21rocsparse_index_base_b.has_recursion, 0
	.set _ZN9rocsparseL22gebsrmvn_mxn_16_kernelILj80ELj16ELj5E21rocsparse_complex_numIdEEEvi20rocsparse_direction_NS_24const_host_device_scalarIT2_EEPKiS8_PKS5_iiSA_S6_PS5_21rocsparse_index_base_b.has_indirect_call, 0
	.section	.AMDGPU.csdata,"",@progbits
; Kernel info:
; codeLenInByte = 1288
; TotalNumSgprs: 18
; NumVgprs: 26
; ScratchSize: 0
; MemoryBound: 0
; FloatMode: 240
; IeeeMode: 1
; LDSByteSize: 1280 bytes/workgroup (compile time only)
; SGPRBlocks: 0
; VGPRBlocks: 1
; NumSGPRsForWavesPerEU: 18
; NumVGPRsForWavesPerEU: 26
; NamedBarCnt: 0
; Occupancy: 16
; WaveLimiterHint : 1
; COMPUTE_PGM_RSRC2:SCRATCH_EN: 0
; COMPUTE_PGM_RSRC2:USER_SGPR: 2
; COMPUTE_PGM_RSRC2:TRAP_HANDLER: 0
; COMPUTE_PGM_RSRC2:TGID_X_EN: 1
; COMPUTE_PGM_RSRC2:TGID_Y_EN: 0
; COMPUTE_PGM_RSRC2:TGID_Z_EN: 0
; COMPUTE_PGM_RSRC2:TIDIG_COMP_CNT: 0
	.section	.text._ZN9rocsparseL22gebsrmvn_mxn_16_kernelILj96ELj16ELj6E21rocsparse_complex_numIdEEEvi20rocsparse_direction_NS_24const_host_device_scalarIT2_EEPKiS8_PKS5_iiSA_S6_PS5_21rocsparse_index_base_b,"axG",@progbits,_ZN9rocsparseL22gebsrmvn_mxn_16_kernelILj96ELj16ELj6E21rocsparse_complex_numIdEEEvi20rocsparse_direction_NS_24const_host_device_scalarIT2_EEPKiS8_PKS5_iiSA_S6_PS5_21rocsparse_index_base_b,comdat
	.globl	_ZN9rocsparseL22gebsrmvn_mxn_16_kernelILj96ELj16ELj6E21rocsparse_complex_numIdEEEvi20rocsparse_direction_NS_24const_host_device_scalarIT2_EEPKiS8_PKS5_iiSA_S6_PS5_21rocsparse_index_base_b ; -- Begin function _ZN9rocsparseL22gebsrmvn_mxn_16_kernelILj96ELj16ELj6E21rocsparse_complex_numIdEEEvi20rocsparse_direction_NS_24const_host_device_scalarIT2_EEPKiS8_PKS5_iiSA_S6_PS5_21rocsparse_index_base_b
	.p2align	8
	.type	_ZN9rocsparseL22gebsrmvn_mxn_16_kernelILj96ELj16ELj6E21rocsparse_complex_numIdEEEvi20rocsparse_direction_NS_24const_host_device_scalarIT2_EEPKiS8_PKS5_iiSA_S6_PS5_21rocsparse_index_base_b,@function
_ZN9rocsparseL22gebsrmvn_mxn_16_kernelILj96ELj16ELj6E21rocsparse_complex_numIdEEEvi20rocsparse_direction_NS_24const_host_device_scalarIT2_EEPKiS8_PKS5_iiSA_S6_PS5_21rocsparse_index_base_b: ; @_ZN9rocsparseL22gebsrmvn_mxn_16_kernelILj96ELj16ELj6E21rocsparse_complex_numIdEEEvi20rocsparse_direction_NS_24const_host_device_scalarIT2_EEPKiS8_PKS5_iiSA_S6_PS5_21rocsparse_index_base_b
; %bb.0:
	s_clause 0x1
	s_load_b64 s[10:11], s[0:1], 0x58
	s_load_b64 s[2:3], s[0:1], 0x8
	v_mov_b32_e32 v1, 0
	s_add_nc_u64 s[4:5], s[0:1], 8
	s_load_b64 s[6:7], s[0:1], 0x40
	s_wait_kmcnt 0x0
	s_bitcmp1_b32 s11, 0
	s_cselect_b32 s3, s5, s3
	s_cselect_b32 s2, s4, s2
	flat_load_b128 v[6:9], v1, s[2:3]
	s_wait_xcnt 0x0
	s_add_nc_u64 s[2:3], s[0:1], 64
	s_delay_alu instid0(SALU_CYCLE_1)
	s_cselect_b32 s3, s3, s7
	s_cselect_b32 s2, s2, s6
	flat_load_b128 v[2:5], v1, s[2:3]
	s_wait_loadcnt_dscnt 0x101
	v_cmp_eq_f64_e32 vcc_lo, 0, v[6:7]
	s_wait_xcnt 0x0
	v_cmp_eq_f64_e64 s2, 0, v[8:9]
	s_and_b32 s4, vcc_lo, s2
	s_mov_b32 s2, -1
	s_and_saveexec_b32 s3, s4
	s_cbranch_execz .LBB133_2
; %bb.1:
	s_wait_loadcnt_dscnt 0x0
	v_cmp_neq_f64_e32 vcc_lo, 1.0, v[2:3]
	v_cmp_neq_f64_e64 s2, 0, v[4:5]
	s_or_b32 s2, vcc_lo, s2
	s_delay_alu instid0(SALU_CYCLE_1)
	s_or_not1_b32 s2, s2, exec_lo
.LBB133_2:
	s_or_b32 exec_lo, exec_lo, s3
	s_and_saveexec_b32 s3, s2
	s_cbranch_execz .LBB133_33
; %bb.3:
	s_clause 0x1
	s_load_b32 s4, s[0:1], 0x4
	s_load_b64 s[2:3], s[0:1], 0x18
	s_bfe_u32 s5, ttmp6, 0x4000c
	s_and_b32 s6, ttmp6, 15
	s_add_co_i32 s5, s5, 1
	s_getreg_b32 s7, hwreg(HW_REG_IB_STS2, 6, 4)
	s_mul_i32 s5, ttmp9, s5
	v_mul_u32_u24_e32 v1, 0x2aab, v0
	s_add_co_i32 s6, s6, s5
	s_cmp_eq_u32 s7, 0
	v_mov_b64_e32 v[12:13], 0
	s_cselect_b32 s8, ttmp9, s6
	v_lshrrev_b32_e32 v1, 16, v1
	v_mov_b64_e32 v[10:11], 0
	s_delay_alu instid0(VALU_DEP_2) | instskip(SKIP_2) | instid1(VALU_DEP_1)
	v_mul_lo_u16 v1, v1, 6
	s_wait_kmcnt 0x0
	s_cmp_eq_u32 s4, 1
	v_sub_nc_u16 v14, v0, v1
	s_cselect_b32 vcc_lo, -1, 0
	s_cmp_lg_u32 s4, 1
	s_cselect_b32 s11, -1, 0
	s_ashr_i32 s9, s8, 31
	s_delay_alu instid0(SALU_CYCLE_1) | instskip(NEXT) | instid1(SALU_CYCLE_1)
	s_lshl_b64 s[4:5], s[8:9], 2
	s_add_nc_u64 s[4:5], s[2:3], s[4:5]
	s_load_b64 s[14:15], s[4:5], 0x0
	s_load_b64 s[2:3], s[0:1], 0x50
	s_wait_kmcnt 0x0
	s_cmp_ge_i32 s14, s15
	s_cbranch_scc1 .LBB133_8
; %bb.4:
	v_lshrrev_b32_e32 v1, 4, v0
	s_clause 0x1
	s_load_b128 s[4:7], s[0:1], 0x20
	s_load_b64 s[12:13], s[0:1], 0x38
	v_and_b32_e32 v11, 0xffff, v0
	v_mad_u32 v15, 0x60, s14, v0
	v_mov_b64_e32 v[12:13], 0
	v_mul_lo_u16 v10, v1, 43
	s_wait_xcnt 0x0
	s_mul_i32 s0, s10, 0x60
	v_mul_u32_u24_e32 v11, 0x2ab, v11
	s_sub_co_i32 s1, s14, s10
	v_lshrrev_b16 v10, 8, v10
	v_subrev_nc_u32_e32 v15, s0, v15
	s_delay_alu instid0(VALU_DEP_2) | instskip(SKIP_1) | instid1(VALU_DEP_1)
	v_mul_lo_u16 v10, v10, 6
	s_sub_co_i32 s0, s15, s10
	v_sub_nc_u16 v1, v1, v10
	v_and_b32_e32 v10, 0xffff, v14
	s_delay_alu instid0(VALU_DEP_2) | instskip(NEXT) | instid1(VALU_DEP_1)
	v_and_b32_e32 v16, 0xff, v1
	v_dual_cndmask_b32 v16, v10, v16 :: v_dual_lshrrev_b32 v1, 16, v11
	v_mov_b64_e32 v[10:11], v[12:13]
	s_branch .LBB133_6
.LBB133_5:                              ;   in Loop: Header=BB133_6 Depth=1
	s_or_b32 exec_lo, exec_lo, s9
	v_add_nc_u32_e32 v15, 0x60, v15
	s_add_co_i32 s1, s1, 1
	s_delay_alu instid0(SALU_CYCLE_1)
	s_cmp_ge_i32 s1, s0
	s_cbranch_scc1 .LBB133_8
.LBB133_6:                              ; =>This Inner Loop Header: Depth=1
	s_delay_alu instid0(VALU_DEP_2) | instskip(SKIP_1) | instid1(VALU_DEP_1)
	v_add_nc_u32_e32 v17, s1, v1
	s_mov_b32 s9, exec_lo
	v_cmpx_gt_i32_e64 s0, v17
	s_cbranch_execz .LBB133_5
; %bb.7:                                ;   in Loop: Header=BB133_6 Depth=1
	s_wait_kmcnt 0x0
	global_load_b32 v17, v17, s[4:5] scale_offset
	s_wait_loadcnt 0x0
	v_subrev_nc_u32_e32 v17, s10, v17
	s_delay_alu instid0(VALU_DEP_1)
	v_mad_u32 v17, v17, 6, v16
	global_load_b128 v[18:21], v15, s[6:7] scale_offset
	global_load_b128 v[22:25], v17, s[12:13] scale_offset
	s_wait_loadcnt 0x0
	v_fmac_f64_e32 v[10:11], v[18:19], v[22:23]
	v_fmac_f64_e32 v[12:13], v[20:21], v[22:23]
	s_delay_alu instid0(VALU_DEP_2) | instskip(NEXT) | instid1(VALU_DEP_2)
	v_fma_f64 v[10:11], -v[20:21], v[24:25], v[10:11]
	v_fmac_f64_e32 v[12:13], v[18:19], v[24:25]
	s_branch .LBB133_5
.LBB133_8:
	v_lshlrev_b32_e32 v1, 4, v0
	s_and_b32 vcc_lo, exec_lo, s11
	ds_store_b128 v1, v[10:13]
	s_wait_loadcnt_dscnt 0x0
	s_barrier_signal -1
	s_barrier_wait -1
	s_cbranch_vccz .LBB133_18
; %bb.9:
	v_cmp_gt_u16_e32 vcc_lo, 2, v14
	s_and_saveexec_b32 s0, vcc_lo
	s_cbranch_execz .LBB133_11
; %bb.10:
	ds_load_b128 v[16:19], v1 offset:64
	ds_load_b128 v[20:23], v1
	s_wait_dscnt 0x0
	v_add_f64_e32 v[16:17], v[16:17], v[20:21]
	v_add_f64_e32 v[18:19], v[18:19], v[22:23]
	ds_store_b128 v1, v[16:19]
.LBB133_11:
	s_or_b32 exec_lo, exec_lo, s0
	s_wait_dscnt 0x0
	s_barrier_signal -1
	s_barrier_wait -1
	s_and_saveexec_b32 s0, vcc_lo
	s_cbranch_execz .LBB133_13
; %bb.12:
	ds_load_b128 v[16:19], v1
	ds_load_b128 v[20:23], v1 offset:32
	s_wait_dscnt 0x0
	v_add_f64_e32 v[16:17], v[20:21], v[16:17]
	v_add_f64_e32 v[18:19], v[22:23], v[18:19]
	ds_store_b128 v1, v[16:19]
.LBB133_13:
	s_or_b32 exec_lo, exec_lo, s0
	s_delay_alu instid0(SALU_CYCLE_1)
	s_mov_b32 s0, exec_lo
	s_wait_dscnt 0x0
	s_barrier_signal -1
	s_barrier_wait -1
	v_cmpx_eq_u16_e32 0, v14
	s_cbranch_execz .LBB133_15
; %bb.14:
	ds_load_b128 v[14:17], v1
	ds_load_b128 v[18:21], v1 offset:16
	s_wait_dscnt 0x0
	v_add_f64_e32 v[14:15], v[18:19], v[14:15]
	v_add_f64_e32 v[16:17], v[20:21], v[16:17]
	ds_store_b128 v1, v[14:17]
.LBB133_15:
	s_or_b32 exec_lo, exec_lo, s0
	v_mov_b64_e32 v[16:17], v[12:13]
	v_mov_b64_e32 v[14:15], v[10:11]
	s_mov_b32 s0, exec_lo
	s_wait_dscnt 0x0
	s_barrier_signal -1
	s_barrier_wait -1
	v_cmpx_gt_u32_e32 16, v0
; %bb.16:
	v_mad_u32_u24 v14, 0x50, v0, v1
	ds_load_b128 v[14:17], v14
; %bb.17:
	s_or_b32 exec_lo, exec_lo, s0
	s_branch .LBB133_28
.LBB133_18:
                                        ; implicit-def: $vgpr16_vgpr17
	s_cbranch_execz .LBB133_28
; %bb.19:
	v_cmp_gt_u32_e32 vcc_lo, 32, v0
	s_and_saveexec_b32 s0, vcc_lo
	s_cbranch_execz .LBB133_21
; %bb.20:
	s_wait_dscnt 0x0
	ds_load_b128 v[14:17], v1 offset:1024
	ds_load_b128 v[18:21], v1
	s_wait_dscnt 0x0
	v_add_f64_e32 v[14:15], v[14:15], v[18:19]
	v_add_f64_e32 v[16:17], v[16:17], v[20:21]
	ds_store_b128 v1, v[14:17]
.LBB133_21:
	s_or_b32 exec_lo, exec_lo, s0
	s_wait_dscnt 0x0
	s_barrier_signal -1
	s_barrier_wait -1
	s_and_saveexec_b32 s0, vcc_lo
	s_cbranch_execz .LBB133_23
; %bb.22:
	ds_load_b128 v[14:17], v1 offset:512
	ds_load_b128 v[18:21], v1
	s_wait_dscnt 0x0
	v_add_f64_e32 v[14:15], v[14:15], v[18:19]
	v_add_f64_e32 v[16:17], v[16:17], v[20:21]
	ds_store_b128 v1, v[14:17]
.LBB133_23:
	s_or_b32 exec_lo, exec_lo, s0
	s_delay_alu instid0(SALU_CYCLE_1)
	s_mov_b32 s0, exec_lo
	s_wait_dscnt 0x0
	v_cmpx_lt_u32_e32 15, v0
	s_xor_b32 s0, exec_lo, s0
; %bb.24:
                                        ; implicit-def: $vgpr1
; %bb.25:
	s_delay_alu instid0(SALU_CYCLE_1)
	s_and_not1_saveexec_b32 s0, s0
	s_cbranch_execz .LBB133_27
; %bb.26:
	ds_load_b128 v[10:13], v1 offset:256
	ds_load_b128 v[14:17], v1
	s_wait_dscnt 0x0
	v_add_f64_e32 v[10:11], v[10:11], v[14:15]
	v_add_f64_e32 v[12:13], v[12:13], v[16:17]
	ds_store_b128 v1, v[10:13]
	s_wait_dscnt 0x0
	ds_load_b128 v[10:13], v1
.LBB133_27:
	s_or_b32 exec_lo, exec_lo, s0
	s_wait_dscnt 0x0
	v_mov_b64_e32 v[16:17], v[12:13]
	v_mov_b64_e32 v[14:15], v[10:11]
.LBB133_28:
	v_cmp_gt_u32_e32 vcc_lo, 16, v0
	s_and_b32 exec_lo, exec_lo, vcc_lo
	s_cbranch_execz .LBB133_33
; %bb.29:
	s_wait_dscnt 0x0
	s_delay_alu instid0(VALU_DEP_3)
	v_mul_f64_e64 v[10:11], v[16:17], -v[8:9]
	v_mul_f64_e32 v[12:13], v[6:7], v[16:17]
	v_cmp_eq_f64_e32 vcc_lo, 0, v[2:3]
	v_cmp_eq_f64_e64 s0, 0, v[4:5]
	v_lshl_or_b32 v0, s8, 4, v0
	v_fmac_f64_e32 v[10:11], v[6:7], v[14:15]
	v_fmac_f64_e32 v[12:13], v[8:9], v[14:15]
	s_and_b32 s0, vcc_lo, s0
	s_delay_alu instid0(SALU_CYCLE_1) | instskip(NEXT) | instid1(SALU_CYCLE_1)
	s_and_saveexec_b32 s1, s0
	s_xor_b32 s0, exec_lo, s1
	s_cbranch_execz .LBB133_31
; %bb.30:
	global_store_b128 v0, v[10:13], s[2:3] scale_offset
                                        ; implicit-def: $vgpr0
                                        ; implicit-def: $vgpr2_vgpr3
                                        ; implicit-def: $vgpr10_vgpr11
.LBB133_31:
	s_wait_xcnt 0x0
	s_and_not1_saveexec_b32 s0, s0
	s_cbranch_execz .LBB133_33
; %bb.32:
	global_load_b128 v[6:9], v0, s[2:3] scale_offset
	s_wait_loadcnt 0x0
	v_fmac_f64_e32 v[10:11], v[2:3], v[6:7]
	v_fmac_f64_e32 v[12:13], v[4:5], v[6:7]
	s_delay_alu instid0(VALU_DEP_2) | instskip(NEXT) | instid1(VALU_DEP_2)
	v_fma_f64 v[10:11], -v[4:5], v[8:9], v[10:11]
	v_fmac_f64_e32 v[12:13], v[2:3], v[8:9]
	global_store_b128 v0, v[10:13], s[2:3] scale_offset
.LBB133_33:
	s_endpgm
	.section	.rodata,"a",@progbits
	.p2align	6, 0x0
	.amdhsa_kernel _ZN9rocsparseL22gebsrmvn_mxn_16_kernelILj96ELj16ELj6E21rocsparse_complex_numIdEEEvi20rocsparse_direction_NS_24const_host_device_scalarIT2_EEPKiS8_PKS5_iiSA_S6_PS5_21rocsparse_index_base_b
		.amdhsa_group_segment_fixed_size 1536
		.amdhsa_private_segment_fixed_size 0
		.amdhsa_kernarg_size 96
		.amdhsa_user_sgpr_count 2
		.amdhsa_user_sgpr_dispatch_ptr 0
		.amdhsa_user_sgpr_queue_ptr 0
		.amdhsa_user_sgpr_kernarg_segment_ptr 1
		.amdhsa_user_sgpr_dispatch_id 0
		.amdhsa_user_sgpr_kernarg_preload_length 0
		.amdhsa_user_sgpr_kernarg_preload_offset 0
		.amdhsa_user_sgpr_private_segment_size 0
		.amdhsa_wavefront_size32 1
		.amdhsa_uses_dynamic_stack 0
		.amdhsa_enable_private_segment 0
		.amdhsa_system_sgpr_workgroup_id_x 1
		.amdhsa_system_sgpr_workgroup_id_y 0
		.amdhsa_system_sgpr_workgroup_id_z 0
		.amdhsa_system_sgpr_workgroup_info 0
		.amdhsa_system_vgpr_workitem_id 0
		.amdhsa_next_free_vgpr 26
		.amdhsa_next_free_sgpr 16
		.amdhsa_named_barrier_count 0
		.amdhsa_reserve_vcc 1
		.amdhsa_float_round_mode_32 0
		.amdhsa_float_round_mode_16_64 0
		.amdhsa_float_denorm_mode_32 3
		.amdhsa_float_denorm_mode_16_64 3
		.amdhsa_fp16_overflow 0
		.amdhsa_memory_ordered 1
		.amdhsa_forward_progress 1
		.amdhsa_inst_pref_size 10
		.amdhsa_round_robin_scheduling 0
		.amdhsa_exception_fp_ieee_invalid_op 0
		.amdhsa_exception_fp_denorm_src 0
		.amdhsa_exception_fp_ieee_div_zero 0
		.amdhsa_exception_fp_ieee_overflow 0
		.amdhsa_exception_fp_ieee_underflow 0
		.amdhsa_exception_fp_ieee_inexact 0
		.amdhsa_exception_int_div_zero 0
	.end_amdhsa_kernel
	.section	.text._ZN9rocsparseL22gebsrmvn_mxn_16_kernelILj96ELj16ELj6E21rocsparse_complex_numIdEEEvi20rocsparse_direction_NS_24const_host_device_scalarIT2_EEPKiS8_PKS5_iiSA_S6_PS5_21rocsparse_index_base_b,"axG",@progbits,_ZN9rocsparseL22gebsrmvn_mxn_16_kernelILj96ELj16ELj6E21rocsparse_complex_numIdEEEvi20rocsparse_direction_NS_24const_host_device_scalarIT2_EEPKiS8_PKS5_iiSA_S6_PS5_21rocsparse_index_base_b,comdat
.Lfunc_end133:
	.size	_ZN9rocsparseL22gebsrmvn_mxn_16_kernelILj96ELj16ELj6E21rocsparse_complex_numIdEEEvi20rocsparse_direction_NS_24const_host_device_scalarIT2_EEPKiS8_PKS5_iiSA_S6_PS5_21rocsparse_index_base_b, .Lfunc_end133-_ZN9rocsparseL22gebsrmvn_mxn_16_kernelILj96ELj16ELj6E21rocsparse_complex_numIdEEEvi20rocsparse_direction_NS_24const_host_device_scalarIT2_EEPKiS8_PKS5_iiSA_S6_PS5_21rocsparse_index_base_b
                                        ; -- End function
	.set _ZN9rocsparseL22gebsrmvn_mxn_16_kernelILj96ELj16ELj6E21rocsparse_complex_numIdEEEvi20rocsparse_direction_NS_24const_host_device_scalarIT2_EEPKiS8_PKS5_iiSA_S6_PS5_21rocsparse_index_base_b.num_vgpr, 26
	.set _ZN9rocsparseL22gebsrmvn_mxn_16_kernelILj96ELj16ELj6E21rocsparse_complex_numIdEEEvi20rocsparse_direction_NS_24const_host_device_scalarIT2_EEPKiS8_PKS5_iiSA_S6_PS5_21rocsparse_index_base_b.num_agpr, 0
	.set _ZN9rocsparseL22gebsrmvn_mxn_16_kernelILj96ELj16ELj6E21rocsparse_complex_numIdEEEvi20rocsparse_direction_NS_24const_host_device_scalarIT2_EEPKiS8_PKS5_iiSA_S6_PS5_21rocsparse_index_base_b.numbered_sgpr, 16
	.set _ZN9rocsparseL22gebsrmvn_mxn_16_kernelILj96ELj16ELj6E21rocsparse_complex_numIdEEEvi20rocsparse_direction_NS_24const_host_device_scalarIT2_EEPKiS8_PKS5_iiSA_S6_PS5_21rocsparse_index_base_b.num_named_barrier, 0
	.set _ZN9rocsparseL22gebsrmvn_mxn_16_kernelILj96ELj16ELj6E21rocsparse_complex_numIdEEEvi20rocsparse_direction_NS_24const_host_device_scalarIT2_EEPKiS8_PKS5_iiSA_S6_PS5_21rocsparse_index_base_b.private_seg_size, 0
	.set _ZN9rocsparseL22gebsrmvn_mxn_16_kernelILj96ELj16ELj6E21rocsparse_complex_numIdEEEvi20rocsparse_direction_NS_24const_host_device_scalarIT2_EEPKiS8_PKS5_iiSA_S6_PS5_21rocsparse_index_base_b.uses_vcc, 1
	.set _ZN9rocsparseL22gebsrmvn_mxn_16_kernelILj96ELj16ELj6E21rocsparse_complex_numIdEEEvi20rocsparse_direction_NS_24const_host_device_scalarIT2_EEPKiS8_PKS5_iiSA_S6_PS5_21rocsparse_index_base_b.uses_flat_scratch, 0
	.set _ZN9rocsparseL22gebsrmvn_mxn_16_kernelILj96ELj16ELj6E21rocsparse_complex_numIdEEEvi20rocsparse_direction_NS_24const_host_device_scalarIT2_EEPKiS8_PKS5_iiSA_S6_PS5_21rocsparse_index_base_b.has_dyn_sized_stack, 0
	.set _ZN9rocsparseL22gebsrmvn_mxn_16_kernelILj96ELj16ELj6E21rocsparse_complex_numIdEEEvi20rocsparse_direction_NS_24const_host_device_scalarIT2_EEPKiS8_PKS5_iiSA_S6_PS5_21rocsparse_index_base_b.has_recursion, 0
	.set _ZN9rocsparseL22gebsrmvn_mxn_16_kernelILj96ELj16ELj6E21rocsparse_complex_numIdEEEvi20rocsparse_direction_NS_24const_host_device_scalarIT2_EEPKiS8_PKS5_iiSA_S6_PS5_21rocsparse_index_base_b.has_indirect_call, 0
	.section	.AMDGPU.csdata,"",@progbits
; Kernel info:
; codeLenInByte = 1272
; TotalNumSgprs: 18
; NumVgprs: 26
; ScratchSize: 0
; MemoryBound: 0
; FloatMode: 240
; IeeeMode: 1
; LDSByteSize: 1536 bytes/workgroup (compile time only)
; SGPRBlocks: 0
; VGPRBlocks: 1
; NumSGPRsForWavesPerEU: 18
; NumVGPRsForWavesPerEU: 26
; NamedBarCnt: 0
; Occupancy: 16
; WaveLimiterHint : 1
; COMPUTE_PGM_RSRC2:SCRATCH_EN: 0
; COMPUTE_PGM_RSRC2:USER_SGPR: 2
; COMPUTE_PGM_RSRC2:TRAP_HANDLER: 0
; COMPUTE_PGM_RSRC2:TGID_X_EN: 1
; COMPUTE_PGM_RSRC2:TGID_Y_EN: 0
; COMPUTE_PGM_RSRC2:TGID_Z_EN: 0
; COMPUTE_PGM_RSRC2:TIDIG_COMP_CNT: 0
	.section	.text._ZN9rocsparseL22gebsrmvn_mxn_16_kernelILj112ELj16ELj7E21rocsparse_complex_numIdEEEvi20rocsparse_direction_NS_24const_host_device_scalarIT2_EEPKiS8_PKS5_iiSA_S6_PS5_21rocsparse_index_base_b,"axG",@progbits,_ZN9rocsparseL22gebsrmvn_mxn_16_kernelILj112ELj16ELj7E21rocsparse_complex_numIdEEEvi20rocsparse_direction_NS_24const_host_device_scalarIT2_EEPKiS8_PKS5_iiSA_S6_PS5_21rocsparse_index_base_b,comdat
	.globl	_ZN9rocsparseL22gebsrmvn_mxn_16_kernelILj112ELj16ELj7E21rocsparse_complex_numIdEEEvi20rocsparse_direction_NS_24const_host_device_scalarIT2_EEPKiS8_PKS5_iiSA_S6_PS5_21rocsparse_index_base_b ; -- Begin function _ZN9rocsparseL22gebsrmvn_mxn_16_kernelILj112ELj16ELj7E21rocsparse_complex_numIdEEEvi20rocsparse_direction_NS_24const_host_device_scalarIT2_EEPKiS8_PKS5_iiSA_S6_PS5_21rocsparse_index_base_b
	.p2align	8
	.type	_ZN9rocsparseL22gebsrmvn_mxn_16_kernelILj112ELj16ELj7E21rocsparse_complex_numIdEEEvi20rocsparse_direction_NS_24const_host_device_scalarIT2_EEPKiS8_PKS5_iiSA_S6_PS5_21rocsparse_index_base_b,@function
_ZN9rocsparseL22gebsrmvn_mxn_16_kernelILj112ELj16ELj7E21rocsparse_complex_numIdEEEvi20rocsparse_direction_NS_24const_host_device_scalarIT2_EEPKiS8_PKS5_iiSA_S6_PS5_21rocsparse_index_base_b: ; @_ZN9rocsparseL22gebsrmvn_mxn_16_kernelILj112ELj16ELj7E21rocsparse_complex_numIdEEEvi20rocsparse_direction_NS_24const_host_device_scalarIT2_EEPKiS8_PKS5_iiSA_S6_PS5_21rocsparse_index_base_b
; %bb.0:
	s_clause 0x1
	s_load_b64 s[10:11], s[0:1], 0x58
	s_load_b64 s[2:3], s[0:1], 0x8
	v_mov_b32_e32 v1, 0
	s_add_nc_u64 s[4:5], s[0:1], 8
	s_load_b64 s[6:7], s[0:1], 0x40
	s_wait_kmcnt 0x0
	s_bitcmp1_b32 s11, 0
	s_cselect_b32 s3, s5, s3
	s_cselect_b32 s2, s4, s2
	flat_load_b128 v[6:9], v1, s[2:3]
	s_wait_xcnt 0x0
	s_add_nc_u64 s[2:3], s[0:1], 64
	s_delay_alu instid0(SALU_CYCLE_1)
	s_cselect_b32 s3, s3, s7
	s_cselect_b32 s2, s2, s6
	flat_load_b128 v[2:5], v1, s[2:3]
	s_wait_loadcnt_dscnt 0x101
	v_cmp_eq_f64_e32 vcc_lo, 0, v[6:7]
	s_wait_xcnt 0x0
	v_cmp_eq_f64_e64 s2, 0, v[8:9]
	s_and_b32 s4, vcc_lo, s2
	s_mov_b32 s2, -1
	s_and_saveexec_b32 s3, s4
	s_cbranch_execz .LBB134_2
; %bb.1:
	s_wait_loadcnt_dscnt 0x0
	v_cmp_neq_f64_e32 vcc_lo, 1.0, v[2:3]
	v_cmp_neq_f64_e64 s2, 0, v[4:5]
	s_or_b32 s2, vcc_lo, s2
	s_delay_alu instid0(SALU_CYCLE_1)
	s_or_not1_b32 s2, s2, exec_lo
.LBB134_2:
	s_or_b32 exec_lo, exec_lo, s3
	s_and_saveexec_b32 s3, s2
	s_cbranch_execz .LBB134_33
; %bb.3:
	s_clause 0x1
	s_load_b32 s4, s[0:1], 0x4
	s_load_b64 s[2:3], s[0:1], 0x18
	s_bfe_u32 s5, ttmp6, 0x4000c
	s_and_b32 s6, ttmp6, 15
	s_add_co_i32 s5, s5, 1
	s_getreg_b32 s7, hwreg(HW_REG_IB_STS2, 6, 4)
	s_mul_i32 s5, ttmp9, s5
	v_mul_u32_u24_e32 v1, 0x2493, v0
	s_add_co_i32 s6, s6, s5
	s_cmp_eq_u32 s7, 0
	v_mov_b64_e32 v[12:13], 0
	s_cselect_b32 s8, ttmp9, s6
	v_lshrrev_b32_e32 v1, 16, v1
	v_mov_b64_e32 v[10:11], 0
	s_delay_alu instid0(VALU_DEP_2) | instskip(SKIP_2) | instid1(VALU_DEP_1)
	v_mul_lo_u16 v1, v1, 7
	s_wait_kmcnt 0x0
	s_cmp_eq_u32 s4, 1
	v_sub_nc_u16 v14, v0, v1
	s_cselect_b32 vcc_lo, -1, 0
	s_cmp_lg_u32 s4, 1
	s_cselect_b32 s11, -1, 0
	s_ashr_i32 s9, s8, 31
	s_delay_alu instid0(SALU_CYCLE_1) | instskip(NEXT) | instid1(SALU_CYCLE_1)
	s_lshl_b64 s[4:5], s[8:9], 2
	s_add_nc_u64 s[4:5], s[2:3], s[4:5]
	s_load_b64 s[14:15], s[4:5], 0x0
	s_load_b64 s[2:3], s[0:1], 0x50
	s_wait_kmcnt 0x0
	s_cmp_ge_i32 s14, s15
	s_cbranch_scc1 .LBB134_8
; %bb.4:
	v_lshrrev_b32_e32 v1, 4, v0
	s_clause 0x1
	s_load_b128 s[4:7], s[0:1], 0x20
	s_load_b64 s[12:13], s[0:1], 0x38
	v_and_b32_e32 v11, 0xffff, v0
	v_mad_u32 v15, 0x70, s14, v0
	v_mov_b64_e32 v[12:13], 0
	v_mul_lo_u16 v10, v1, 37
	s_wait_xcnt 0x0
	s_mul_i32 s0, s10, 0x70
	v_mul_u32_u24_e32 v11, 0x24a, v11
	s_sub_co_i32 s1, s14, s10
	v_lshrrev_b16 v10, 8, v10
	v_subrev_nc_u32_e32 v15, s0, v15
	s_delay_alu instid0(VALU_DEP_2) | instskip(SKIP_1) | instid1(VALU_DEP_1)
	v_mul_lo_u16 v10, v10, 7
	s_sub_co_i32 s0, s15, s10
	v_sub_nc_u16 v1, v1, v10
	v_and_b32_e32 v10, 0xffff, v14
	s_delay_alu instid0(VALU_DEP_2) | instskip(NEXT) | instid1(VALU_DEP_1)
	v_and_b32_e32 v16, 0xff, v1
	v_dual_cndmask_b32 v16, v10, v16 :: v_dual_lshrrev_b32 v1, 16, v11
	v_mov_b64_e32 v[10:11], v[12:13]
	s_branch .LBB134_6
.LBB134_5:                              ;   in Loop: Header=BB134_6 Depth=1
	s_or_b32 exec_lo, exec_lo, s9
	v_add_nc_u32_e32 v15, 0x70, v15
	s_add_co_i32 s1, s1, 1
	s_delay_alu instid0(SALU_CYCLE_1)
	s_cmp_ge_i32 s1, s0
	s_cbranch_scc1 .LBB134_8
.LBB134_6:                              ; =>This Inner Loop Header: Depth=1
	s_delay_alu instid0(VALU_DEP_2) | instskip(SKIP_1) | instid1(VALU_DEP_1)
	v_add_nc_u32_e32 v17, s1, v1
	s_mov_b32 s9, exec_lo
	v_cmpx_gt_i32_e64 s0, v17
	s_cbranch_execz .LBB134_5
; %bb.7:                                ;   in Loop: Header=BB134_6 Depth=1
	s_wait_kmcnt 0x0
	global_load_b32 v17, v17, s[4:5] scale_offset
	s_wait_loadcnt 0x0
	v_subrev_nc_u32_e32 v17, s10, v17
	s_delay_alu instid0(VALU_DEP_1)
	v_mad_u32 v17, v17, 7, v16
	global_load_b128 v[18:21], v15, s[6:7] scale_offset
	global_load_b128 v[22:25], v17, s[12:13] scale_offset
	s_wait_loadcnt 0x0
	v_fmac_f64_e32 v[10:11], v[18:19], v[22:23]
	v_fmac_f64_e32 v[12:13], v[20:21], v[22:23]
	s_delay_alu instid0(VALU_DEP_2) | instskip(NEXT) | instid1(VALU_DEP_2)
	v_fma_f64 v[10:11], -v[20:21], v[24:25], v[10:11]
	v_fmac_f64_e32 v[12:13], v[18:19], v[24:25]
	s_branch .LBB134_5
.LBB134_8:
	v_lshlrev_b32_e32 v1, 4, v0
	s_and_b32 vcc_lo, exec_lo, s11
	ds_store_b128 v1, v[10:13]
	s_wait_loadcnt_dscnt 0x0
	s_barrier_signal -1
	s_barrier_wait -1
	s_cbranch_vccz .LBB134_18
; %bb.9:
	s_mov_b32 s0, exec_lo
	v_cmpx_gt_u16_e32 3, v14
	s_cbranch_execz .LBB134_11
; %bb.10:
	ds_load_b128 v[16:19], v1 offset:64
	ds_load_b128 v[20:23], v1
	s_wait_dscnt 0x0
	v_add_f64_e32 v[16:17], v[16:17], v[20:21]
	v_add_f64_e32 v[18:19], v[18:19], v[22:23]
	ds_store_b128 v1, v[16:19]
.LBB134_11:
	s_or_b32 exec_lo, exec_lo, s0
	s_delay_alu instid0(SALU_CYCLE_1)
	s_mov_b32 s0, exec_lo
	s_wait_dscnt 0x0
	s_barrier_signal -1
	s_barrier_wait -1
	v_cmpx_gt_u16_e32 2, v14
	s_cbranch_execz .LBB134_13
; %bb.12:
	ds_load_b128 v[16:19], v1
	ds_load_b128 v[20:23], v1 offset:32
	s_wait_dscnt 0x0
	v_add_f64_e32 v[16:17], v[20:21], v[16:17]
	v_add_f64_e32 v[18:19], v[22:23], v[18:19]
	ds_store_b128 v1, v[16:19]
.LBB134_13:
	s_or_b32 exec_lo, exec_lo, s0
	s_delay_alu instid0(SALU_CYCLE_1)
	s_mov_b32 s0, exec_lo
	s_wait_dscnt 0x0
	s_barrier_signal -1
	s_barrier_wait -1
	v_cmpx_eq_u16_e32 0, v14
	s_cbranch_execz .LBB134_15
; %bb.14:
	ds_load_b128 v[14:17], v1
	ds_load_b128 v[18:21], v1 offset:16
	s_wait_dscnt 0x0
	v_add_f64_e32 v[14:15], v[18:19], v[14:15]
	v_add_f64_e32 v[16:17], v[20:21], v[16:17]
	ds_store_b128 v1, v[14:17]
.LBB134_15:
	s_or_b32 exec_lo, exec_lo, s0
	v_mov_b64_e32 v[16:17], v[12:13]
	v_mov_b64_e32 v[14:15], v[10:11]
	s_mov_b32 s0, exec_lo
	s_wait_dscnt 0x0
	s_barrier_signal -1
	s_barrier_wait -1
	v_cmpx_gt_u32_e32 16, v0
; %bb.16:
	v_mad_u32_u24 v14, 0x60, v0, v1
	ds_load_b128 v[14:17], v14
; %bb.17:
	s_or_b32 exec_lo, exec_lo, s0
	s_branch .LBB134_28
.LBB134_18:
                                        ; implicit-def: $vgpr16_vgpr17
	s_cbranch_execz .LBB134_28
; %bb.19:
	s_mov_b32 s0, exec_lo
	v_cmpx_gt_u32_e32 48, v0
	s_cbranch_execz .LBB134_21
; %bb.20:
	s_wait_dscnt 0x0
	ds_load_b128 v[14:17], v1 offset:1024
	ds_load_b128 v[18:21], v1
	s_wait_dscnt 0x0
	v_add_f64_e32 v[14:15], v[14:15], v[18:19]
	v_add_f64_e32 v[16:17], v[16:17], v[20:21]
	ds_store_b128 v1, v[14:17]
.LBB134_21:
	s_or_b32 exec_lo, exec_lo, s0
	s_delay_alu instid0(SALU_CYCLE_1)
	s_mov_b32 s0, exec_lo
	s_wait_dscnt 0x0
	s_barrier_signal -1
	s_barrier_wait -1
	v_cmpx_gt_u32_e32 32, v0
	s_cbranch_execz .LBB134_23
; %bb.22:
	ds_load_b128 v[14:17], v1 offset:512
	ds_load_b128 v[18:21], v1
	s_wait_dscnt 0x0
	v_add_f64_e32 v[14:15], v[14:15], v[18:19]
	v_add_f64_e32 v[16:17], v[16:17], v[20:21]
	ds_store_b128 v1, v[14:17]
.LBB134_23:
	s_or_b32 exec_lo, exec_lo, s0
	s_delay_alu instid0(SALU_CYCLE_1)
	s_mov_b32 s0, exec_lo
	s_wait_dscnt 0x0
	v_cmpx_lt_u32_e32 15, v0
	s_xor_b32 s0, exec_lo, s0
; %bb.24:
                                        ; implicit-def: $vgpr1
; %bb.25:
	s_delay_alu instid0(SALU_CYCLE_1)
	s_and_not1_saveexec_b32 s0, s0
	s_cbranch_execz .LBB134_27
; %bb.26:
	ds_load_b128 v[10:13], v1 offset:256
	ds_load_b128 v[14:17], v1
	s_wait_dscnt 0x0
	v_add_f64_e32 v[10:11], v[10:11], v[14:15]
	v_add_f64_e32 v[12:13], v[12:13], v[16:17]
	ds_store_b128 v1, v[10:13]
	s_wait_dscnt 0x0
	ds_load_b128 v[10:13], v1
.LBB134_27:
	s_or_b32 exec_lo, exec_lo, s0
	s_wait_dscnt 0x0
	v_mov_b64_e32 v[16:17], v[12:13]
	v_mov_b64_e32 v[14:15], v[10:11]
.LBB134_28:
	v_cmp_gt_u32_e32 vcc_lo, 16, v0
	s_and_b32 exec_lo, exec_lo, vcc_lo
	s_cbranch_execz .LBB134_33
; %bb.29:
	s_wait_dscnt 0x0
	s_delay_alu instid0(VALU_DEP_3)
	v_mul_f64_e64 v[10:11], v[16:17], -v[8:9]
	v_mul_f64_e32 v[12:13], v[6:7], v[16:17]
	v_cmp_eq_f64_e32 vcc_lo, 0, v[2:3]
	v_cmp_eq_f64_e64 s0, 0, v[4:5]
	v_lshl_or_b32 v0, s8, 4, v0
	v_fmac_f64_e32 v[10:11], v[6:7], v[14:15]
	v_fmac_f64_e32 v[12:13], v[8:9], v[14:15]
	s_and_b32 s0, vcc_lo, s0
	s_delay_alu instid0(SALU_CYCLE_1) | instskip(NEXT) | instid1(SALU_CYCLE_1)
	s_and_saveexec_b32 s1, s0
	s_xor_b32 s0, exec_lo, s1
	s_cbranch_execz .LBB134_31
; %bb.30:
	global_store_b128 v0, v[10:13], s[2:3] scale_offset
                                        ; implicit-def: $vgpr0
                                        ; implicit-def: $vgpr2_vgpr3
                                        ; implicit-def: $vgpr10_vgpr11
.LBB134_31:
	s_wait_xcnt 0x0
	s_and_not1_saveexec_b32 s0, s0
	s_cbranch_execz .LBB134_33
; %bb.32:
	global_load_b128 v[6:9], v0, s[2:3] scale_offset
	s_wait_loadcnt 0x0
	v_fmac_f64_e32 v[10:11], v[2:3], v[6:7]
	v_fmac_f64_e32 v[12:13], v[4:5], v[6:7]
	s_delay_alu instid0(VALU_DEP_2) | instskip(NEXT) | instid1(VALU_DEP_2)
	v_fma_f64 v[10:11], -v[4:5], v[8:9], v[10:11]
	v_fmac_f64_e32 v[12:13], v[2:3], v[8:9]
	global_store_b128 v0, v[10:13], s[2:3] scale_offset
.LBB134_33:
	s_endpgm
	.section	.rodata,"a",@progbits
	.p2align	6, 0x0
	.amdhsa_kernel _ZN9rocsparseL22gebsrmvn_mxn_16_kernelILj112ELj16ELj7E21rocsparse_complex_numIdEEEvi20rocsparse_direction_NS_24const_host_device_scalarIT2_EEPKiS8_PKS5_iiSA_S6_PS5_21rocsparse_index_base_b
		.amdhsa_group_segment_fixed_size 1792
		.amdhsa_private_segment_fixed_size 0
		.amdhsa_kernarg_size 96
		.amdhsa_user_sgpr_count 2
		.amdhsa_user_sgpr_dispatch_ptr 0
		.amdhsa_user_sgpr_queue_ptr 0
		.amdhsa_user_sgpr_kernarg_segment_ptr 1
		.amdhsa_user_sgpr_dispatch_id 0
		.amdhsa_user_sgpr_kernarg_preload_length 0
		.amdhsa_user_sgpr_kernarg_preload_offset 0
		.amdhsa_user_sgpr_private_segment_size 0
		.amdhsa_wavefront_size32 1
		.amdhsa_uses_dynamic_stack 0
		.amdhsa_enable_private_segment 0
		.amdhsa_system_sgpr_workgroup_id_x 1
		.amdhsa_system_sgpr_workgroup_id_y 0
		.amdhsa_system_sgpr_workgroup_id_z 0
		.amdhsa_system_sgpr_workgroup_info 0
		.amdhsa_system_vgpr_workitem_id 0
		.amdhsa_next_free_vgpr 26
		.amdhsa_next_free_sgpr 16
		.amdhsa_named_barrier_count 0
		.amdhsa_reserve_vcc 1
		.amdhsa_float_round_mode_32 0
		.amdhsa_float_round_mode_16_64 0
		.amdhsa_float_denorm_mode_32 3
		.amdhsa_float_denorm_mode_16_64 3
		.amdhsa_fp16_overflow 0
		.amdhsa_memory_ordered 1
		.amdhsa_forward_progress 1
		.amdhsa_inst_pref_size 11
		.amdhsa_round_robin_scheduling 0
		.amdhsa_exception_fp_ieee_invalid_op 0
		.amdhsa_exception_fp_denorm_src 0
		.amdhsa_exception_fp_ieee_div_zero 0
		.amdhsa_exception_fp_ieee_overflow 0
		.amdhsa_exception_fp_ieee_underflow 0
		.amdhsa_exception_fp_ieee_inexact 0
		.amdhsa_exception_int_div_zero 0
	.end_amdhsa_kernel
	.section	.text._ZN9rocsparseL22gebsrmvn_mxn_16_kernelILj112ELj16ELj7E21rocsparse_complex_numIdEEEvi20rocsparse_direction_NS_24const_host_device_scalarIT2_EEPKiS8_PKS5_iiSA_S6_PS5_21rocsparse_index_base_b,"axG",@progbits,_ZN9rocsparseL22gebsrmvn_mxn_16_kernelILj112ELj16ELj7E21rocsparse_complex_numIdEEEvi20rocsparse_direction_NS_24const_host_device_scalarIT2_EEPKiS8_PKS5_iiSA_S6_PS5_21rocsparse_index_base_b,comdat
.Lfunc_end134:
	.size	_ZN9rocsparseL22gebsrmvn_mxn_16_kernelILj112ELj16ELj7E21rocsparse_complex_numIdEEEvi20rocsparse_direction_NS_24const_host_device_scalarIT2_EEPKiS8_PKS5_iiSA_S6_PS5_21rocsparse_index_base_b, .Lfunc_end134-_ZN9rocsparseL22gebsrmvn_mxn_16_kernelILj112ELj16ELj7E21rocsparse_complex_numIdEEEvi20rocsparse_direction_NS_24const_host_device_scalarIT2_EEPKiS8_PKS5_iiSA_S6_PS5_21rocsparse_index_base_b
                                        ; -- End function
	.set _ZN9rocsparseL22gebsrmvn_mxn_16_kernelILj112ELj16ELj7E21rocsparse_complex_numIdEEEvi20rocsparse_direction_NS_24const_host_device_scalarIT2_EEPKiS8_PKS5_iiSA_S6_PS5_21rocsparse_index_base_b.num_vgpr, 26
	.set _ZN9rocsparseL22gebsrmvn_mxn_16_kernelILj112ELj16ELj7E21rocsparse_complex_numIdEEEvi20rocsparse_direction_NS_24const_host_device_scalarIT2_EEPKiS8_PKS5_iiSA_S6_PS5_21rocsparse_index_base_b.num_agpr, 0
	.set _ZN9rocsparseL22gebsrmvn_mxn_16_kernelILj112ELj16ELj7E21rocsparse_complex_numIdEEEvi20rocsparse_direction_NS_24const_host_device_scalarIT2_EEPKiS8_PKS5_iiSA_S6_PS5_21rocsparse_index_base_b.numbered_sgpr, 16
	.set _ZN9rocsparseL22gebsrmvn_mxn_16_kernelILj112ELj16ELj7E21rocsparse_complex_numIdEEEvi20rocsparse_direction_NS_24const_host_device_scalarIT2_EEPKiS8_PKS5_iiSA_S6_PS5_21rocsparse_index_base_b.num_named_barrier, 0
	.set _ZN9rocsparseL22gebsrmvn_mxn_16_kernelILj112ELj16ELj7E21rocsparse_complex_numIdEEEvi20rocsparse_direction_NS_24const_host_device_scalarIT2_EEPKiS8_PKS5_iiSA_S6_PS5_21rocsparse_index_base_b.private_seg_size, 0
	.set _ZN9rocsparseL22gebsrmvn_mxn_16_kernelILj112ELj16ELj7E21rocsparse_complex_numIdEEEvi20rocsparse_direction_NS_24const_host_device_scalarIT2_EEPKiS8_PKS5_iiSA_S6_PS5_21rocsparse_index_base_b.uses_vcc, 1
	.set _ZN9rocsparseL22gebsrmvn_mxn_16_kernelILj112ELj16ELj7E21rocsparse_complex_numIdEEEvi20rocsparse_direction_NS_24const_host_device_scalarIT2_EEPKiS8_PKS5_iiSA_S6_PS5_21rocsparse_index_base_b.uses_flat_scratch, 0
	.set _ZN9rocsparseL22gebsrmvn_mxn_16_kernelILj112ELj16ELj7E21rocsparse_complex_numIdEEEvi20rocsparse_direction_NS_24const_host_device_scalarIT2_EEPKiS8_PKS5_iiSA_S6_PS5_21rocsparse_index_base_b.has_dyn_sized_stack, 0
	.set _ZN9rocsparseL22gebsrmvn_mxn_16_kernelILj112ELj16ELj7E21rocsparse_complex_numIdEEEvi20rocsparse_direction_NS_24const_host_device_scalarIT2_EEPKiS8_PKS5_iiSA_S6_PS5_21rocsparse_index_base_b.has_recursion, 0
	.set _ZN9rocsparseL22gebsrmvn_mxn_16_kernelILj112ELj16ELj7E21rocsparse_complex_numIdEEEvi20rocsparse_direction_NS_24const_host_device_scalarIT2_EEPKiS8_PKS5_iiSA_S6_PS5_21rocsparse_index_base_b.has_indirect_call, 0
	.section	.AMDGPU.csdata,"",@progbits
; Kernel info:
; codeLenInByte = 1288
; TotalNumSgprs: 18
; NumVgprs: 26
; ScratchSize: 0
; MemoryBound: 0
; FloatMode: 240
; IeeeMode: 1
; LDSByteSize: 1792 bytes/workgroup (compile time only)
; SGPRBlocks: 0
; VGPRBlocks: 1
; NumSGPRsForWavesPerEU: 18
; NumVGPRsForWavesPerEU: 26
; NamedBarCnt: 0
; Occupancy: 16
; WaveLimiterHint : 1
; COMPUTE_PGM_RSRC2:SCRATCH_EN: 0
; COMPUTE_PGM_RSRC2:USER_SGPR: 2
; COMPUTE_PGM_RSRC2:TRAP_HANDLER: 0
; COMPUTE_PGM_RSRC2:TGID_X_EN: 1
; COMPUTE_PGM_RSRC2:TGID_Y_EN: 0
; COMPUTE_PGM_RSRC2:TGID_Z_EN: 0
; COMPUTE_PGM_RSRC2:TIDIG_COMP_CNT: 0
	.section	.text._ZN9rocsparseL22gebsrmvn_mxn_16_kernelILj128ELj16ELj8E21rocsparse_complex_numIdEEEvi20rocsparse_direction_NS_24const_host_device_scalarIT2_EEPKiS8_PKS5_iiSA_S6_PS5_21rocsparse_index_base_b,"axG",@progbits,_ZN9rocsparseL22gebsrmvn_mxn_16_kernelILj128ELj16ELj8E21rocsparse_complex_numIdEEEvi20rocsparse_direction_NS_24const_host_device_scalarIT2_EEPKiS8_PKS5_iiSA_S6_PS5_21rocsparse_index_base_b,comdat
	.globl	_ZN9rocsparseL22gebsrmvn_mxn_16_kernelILj128ELj16ELj8E21rocsparse_complex_numIdEEEvi20rocsparse_direction_NS_24const_host_device_scalarIT2_EEPKiS8_PKS5_iiSA_S6_PS5_21rocsparse_index_base_b ; -- Begin function _ZN9rocsparseL22gebsrmvn_mxn_16_kernelILj128ELj16ELj8E21rocsparse_complex_numIdEEEvi20rocsparse_direction_NS_24const_host_device_scalarIT2_EEPKiS8_PKS5_iiSA_S6_PS5_21rocsparse_index_base_b
	.p2align	8
	.type	_ZN9rocsparseL22gebsrmvn_mxn_16_kernelILj128ELj16ELj8E21rocsparse_complex_numIdEEEvi20rocsparse_direction_NS_24const_host_device_scalarIT2_EEPKiS8_PKS5_iiSA_S6_PS5_21rocsparse_index_base_b,@function
_ZN9rocsparseL22gebsrmvn_mxn_16_kernelILj128ELj16ELj8E21rocsparse_complex_numIdEEEvi20rocsparse_direction_NS_24const_host_device_scalarIT2_EEPKiS8_PKS5_iiSA_S6_PS5_21rocsparse_index_base_b: ; @_ZN9rocsparseL22gebsrmvn_mxn_16_kernelILj128ELj16ELj8E21rocsparse_complex_numIdEEEvi20rocsparse_direction_NS_24const_host_device_scalarIT2_EEPKiS8_PKS5_iiSA_S6_PS5_21rocsparse_index_base_b
; %bb.0:
	s_clause 0x1
	s_load_b64 s[10:11], s[0:1], 0x58
	s_load_b64 s[2:3], s[0:1], 0x8
	v_mov_b32_e32 v1, 0
	s_add_nc_u64 s[4:5], s[0:1], 8
	s_load_b64 s[6:7], s[0:1], 0x40
	s_wait_kmcnt 0x0
	s_bitcmp1_b32 s11, 0
	s_cselect_b32 s3, s5, s3
	s_cselect_b32 s2, s4, s2
	flat_load_b128 v[6:9], v1, s[2:3]
	s_wait_xcnt 0x0
	s_add_nc_u64 s[2:3], s[0:1], 64
	s_delay_alu instid0(SALU_CYCLE_1)
	s_cselect_b32 s3, s3, s7
	s_cselect_b32 s2, s2, s6
	flat_load_b128 v[2:5], v1, s[2:3]
	s_wait_loadcnt_dscnt 0x101
	v_cmp_eq_f64_e32 vcc_lo, 0, v[6:7]
	s_wait_xcnt 0x0
	v_cmp_eq_f64_e64 s2, 0, v[8:9]
	s_and_b32 s4, vcc_lo, s2
	s_mov_b32 s2, -1
	s_and_saveexec_b32 s3, s4
	s_cbranch_execz .LBB135_2
; %bb.1:
	s_wait_loadcnt_dscnt 0x0
	v_cmp_neq_f64_e32 vcc_lo, 1.0, v[2:3]
	v_cmp_neq_f64_e64 s2, 0, v[4:5]
	s_or_b32 s2, vcc_lo, s2
	s_delay_alu instid0(SALU_CYCLE_1)
	s_or_not1_b32 s2, s2, exec_lo
.LBB135_2:
	s_or_b32 exec_lo, exec_lo, s3
	s_and_saveexec_b32 s3, s2
	s_cbranch_execz .LBB135_33
; %bb.3:
	s_clause 0x1
	s_load_b32 s4, s[0:1], 0x4
	s_load_b64 s[2:3], s[0:1], 0x18
	s_bfe_u32 s5, ttmp6, 0x4000c
	s_and_b32 s6, ttmp6, 15
	s_add_co_i32 s5, s5, 1
	s_getreg_b32 s7, hwreg(HW_REG_IB_STS2, 6, 4)
	s_mul_i32 s5, ttmp9, s5
	v_mov_b64_e32 v[12:13], 0
	s_add_co_i32 s6, s6, s5
	s_cmp_eq_u32 s7, 0
	v_mov_b64_e32 v[10:11], 0
	s_cselect_b32 s8, ttmp9, s6
	v_and_b32_e32 v14, 7, v0
	s_wait_kmcnt 0x0
	s_cmp_eq_u32 s4, 1
	s_cselect_b32 vcc_lo, -1, 0
	s_cmp_lg_u32 s4, 1
	s_cselect_b32 s11, -1, 0
	s_ashr_i32 s9, s8, 31
	s_delay_alu instid0(SALU_CYCLE_1) | instskip(NEXT) | instid1(SALU_CYCLE_1)
	s_lshl_b64 s[4:5], s[8:9], 2
	s_add_nc_u64 s[4:5], s[2:3], s[4:5]
	s_load_b64 s[14:15], s[4:5], 0x0
	s_load_b64 s[2:3], s[0:1], 0x50
	s_wait_kmcnt 0x0
	s_cmp_ge_i32 s14, s15
	s_cbranch_scc1 .LBB135_8
; %bb.4:
	s_clause 0x1
	s_load_b128 s[4:7], s[0:1], 0x20
	s_load_b64 s[12:13], s[0:1], 0x38
	v_mov_b64_e32 v[12:13], 0
	v_lshl_or_b32 v10, s14, 7, v0
	v_lshrrev_b32_e32 v1, 4, v0
	s_wait_xcnt 0x0
	s_lshl_b32 s0, s10, 7
	s_sub_co_i32 s1, s14, s10
	v_subrev_nc_u32_e32 v15, s0, v10
	v_mov_b64_e32 v[10:11], v[12:13]
	v_cndmask_b32_e32 v1, v14, v1, vcc_lo
	s_sub_co_i32 s0, s15, s10
	s_branch .LBB135_6
.LBB135_5:                              ;   in Loop: Header=BB135_6 Depth=1
	s_or_b32 exec_lo, exec_lo, s9
	v_add_nc_u32_e32 v15, 0x80, v15
	s_add_co_i32 s1, s1, 1
	s_delay_alu instid0(SALU_CYCLE_1)
	s_cmp_ge_i32 s1, s0
	s_cbranch_scc1 .LBB135_8
.LBB135_6:                              ; =>This Inner Loop Header: Depth=1
	s_cmp_lt_i32 s1, s0
	s_cselect_b32 s14, -1, 0
	s_delay_alu instid0(SALU_CYCLE_1)
	s_and_saveexec_b32 s9, s14
	s_cbranch_execz .LBB135_5
; %bb.7:                                ;   in Loop: Header=BB135_6 Depth=1
	v_mov_b32_e32 v16, s1
	s_wait_kmcnt 0x0
	global_load_b32 v16, v16, s[4:5] scale_offset
	s_wait_loadcnt 0x0
	v_subrev_nc_u32_e32 v16, s10, v16
	s_delay_alu instid0(VALU_DEP_1)
	v_lshl_or_b32 v24, v16, 3, v1
	global_load_b128 v[16:19], v15, s[6:7] scale_offset
	global_load_b128 v[20:23], v24, s[12:13] scale_offset
	s_wait_loadcnt 0x0
	v_fmac_f64_e32 v[10:11], v[16:17], v[20:21]
	v_fmac_f64_e32 v[12:13], v[18:19], v[20:21]
	s_delay_alu instid0(VALU_DEP_2) | instskip(NEXT) | instid1(VALU_DEP_2)
	v_fma_f64 v[10:11], -v[18:19], v[22:23], v[10:11]
	v_fmac_f64_e32 v[12:13], v[16:17], v[22:23]
	s_branch .LBB135_5
.LBB135_8:
	v_lshlrev_b32_e32 v1, 4, v0
	s_and_b32 vcc_lo, exec_lo, s11
	ds_store_b128 v1, v[10:13]
	s_wait_loadcnt_dscnt 0x0
	s_barrier_signal -1
	s_barrier_wait -1
	s_cbranch_vccz .LBB135_18
; %bb.9:
	s_mov_b32 s0, exec_lo
	v_cmpx_gt_u32_e32 4, v14
	s_cbranch_execz .LBB135_11
; %bb.10:
	ds_load_b128 v[16:19], v1 offset:64
	ds_load_b128 v[20:23], v1
	s_wait_dscnt 0x0
	v_add_f64_e32 v[16:17], v[16:17], v[20:21]
	v_add_f64_e32 v[18:19], v[18:19], v[22:23]
	ds_store_b128 v1, v[16:19]
.LBB135_11:
	s_or_b32 exec_lo, exec_lo, s0
	s_delay_alu instid0(SALU_CYCLE_1)
	s_mov_b32 s0, exec_lo
	s_wait_dscnt 0x0
	s_barrier_signal -1
	s_barrier_wait -1
	v_cmpx_gt_u32_e32 2, v14
	s_cbranch_execz .LBB135_13
; %bb.12:
	ds_load_b128 v[16:19], v1
	ds_load_b128 v[20:23], v1 offset:32
	s_wait_dscnt 0x0
	v_add_f64_e32 v[16:17], v[20:21], v[16:17]
	v_add_f64_e32 v[18:19], v[22:23], v[18:19]
	ds_store_b128 v1, v[16:19]
.LBB135_13:
	s_or_b32 exec_lo, exec_lo, s0
	s_delay_alu instid0(SALU_CYCLE_1)
	s_mov_b32 s0, exec_lo
	s_wait_dscnt 0x0
	s_barrier_signal -1
	s_barrier_wait -1
	v_cmpx_eq_u32_e32 0, v14
	s_cbranch_execz .LBB135_15
; %bb.14:
	ds_load_b128 v[14:17], v1
	ds_load_b128 v[18:21], v1 offset:16
	s_wait_dscnt 0x0
	v_add_f64_e32 v[14:15], v[18:19], v[14:15]
	v_add_f64_e32 v[16:17], v[20:21], v[16:17]
	ds_store_b128 v1, v[14:17]
.LBB135_15:
	s_or_b32 exec_lo, exec_lo, s0
	v_mov_b64_e32 v[16:17], v[12:13]
	v_mov_b64_e32 v[14:15], v[10:11]
	s_mov_b32 s0, exec_lo
	s_wait_dscnt 0x0
	s_barrier_signal -1
	s_barrier_wait -1
	v_cmpx_gt_u32_e32 16, v0
; %bb.16:
	v_mad_u32_u24 v14, 0x70, v0, v1
	ds_load_b128 v[14:17], v14
; %bb.17:
	s_or_b32 exec_lo, exec_lo, s0
	s_branch .LBB135_28
.LBB135_18:
                                        ; implicit-def: $vgpr16_vgpr17
	s_cbranch_execz .LBB135_28
; %bb.19:
	s_mov_b32 s0, exec_lo
	v_cmpx_gt_u32_e32 64, v0
	s_cbranch_execz .LBB135_21
; %bb.20:
	s_wait_dscnt 0x0
	ds_load_b128 v[14:17], v1 offset:1024
	ds_load_b128 v[18:21], v1
	s_wait_dscnt 0x0
	v_add_f64_e32 v[14:15], v[14:15], v[18:19]
	v_add_f64_e32 v[16:17], v[16:17], v[20:21]
	ds_store_b128 v1, v[14:17]
.LBB135_21:
	s_or_b32 exec_lo, exec_lo, s0
	s_delay_alu instid0(SALU_CYCLE_1)
	s_mov_b32 s0, exec_lo
	s_wait_dscnt 0x0
	s_barrier_signal -1
	s_barrier_wait -1
	v_cmpx_gt_u32_e32 32, v0
	s_cbranch_execz .LBB135_23
; %bb.22:
	ds_load_b128 v[14:17], v1 offset:512
	ds_load_b128 v[18:21], v1
	s_wait_dscnt 0x0
	v_add_f64_e32 v[14:15], v[14:15], v[18:19]
	v_add_f64_e32 v[16:17], v[16:17], v[20:21]
	ds_store_b128 v1, v[14:17]
.LBB135_23:
	s_or_b32 exec_lo, exec_lo, s0
	s_delay_alu instid0(SALU_CYCLE_1)
	s_mov_b32 s0, exec_lo
	s_wait_dscnt 0x0
	v_cmpx_lt_u32_e32 15, v0
	s_xor_b32 s0, exec_lo, s0
; %bb.24:
                                        ; implicit-def: $vgpr1
; %bb.25:
	s_delay_alu instid0(SALU_CYCLE_1)
	s_and_not1_saveexec_b32 s0, s0
	s_cbranch_execz .LBB135_27
; %bb.26:
	ds_load_b128 v[10:13], v1 offset:256
	ds_load_b128 v[14:17], v1
	s_wait_dscnt 0x0
	v_add_f64_e32 v[10:11], v[10:11], v[14:15]
	v_add_f64_e32 v[12:13], v[12:13], v[16:17]
	ds_store_b128 v1, v[10:13]
	s_wait_dscnt 0x0
	ds_load_b128 v[10:13], v1
.LBB135_27:
	s_or_b32 exec_lo, exec_lo, s0
	s_wait_dscnt 0x0
	v_mov_b64_e32 v[16:17], v[12:13]
	v_mov_b64_e32 v[14:15], v[10:11]
.LBB135_28:
	v_cmp_gt_u32_e32 vcc_lo, 16, v0
	s_and_b32 exec_lo, exec_lo, vcc_lo
	s_cbranch_execz .LBB135_33
; %bb.29:
	s_wait_dscnt 0x0
	s_delay_alu instid0(VALU_DEP_3)
	v_mul_f64_e64 v[10:11], v[16:17], -v[8:9]
	v_mul_f64_e32 v[12:13], v[6:7], v[16:17]
	v_cmp_eq_f64_e32 vcc_lo, 0, v[2:3]
	v_cmp_eq_f64_e64 s0, 0, v[4:5]
	v_lshl_or_b32 v0, s8, 4, v0
	v_fmac_f64_e32 v[10:11], v[6:7], v[14:15]
	v_fmac_f64_e32 v[12:13], v[8:9], v[14:15]
	s_and_b32 s0, vcc_lo, s0
	s_delay_alu instid0(SALU_CYCLE_1) | instskip(NEXT) | instid1(SALU_CYCLE_1)
	s_and_saveexec_b32 s1, s0
	s_xor_b32 s0, exec_lo, s1
	s_cbranch_execz .LBB135_31
; %bb.30:
	global_store_b128 v0, v[10:13], s[2:3] scale_offset
                                        ; implicit-def: $vgpr0
                                        ; implicit-def: $vgpr2_vgpr3
                                        ; implicit-def: $vgpr10_vgpr11
.LBB135_31:
	s_wait_xcnt 0x0
	s_and_not1_saveexec_b32 s0, s0
	s_cbranch_execz .LBB135_33
; %bb.32:
	global_load_b128 v[6:9], v0, s[2:3] scale_offset
	s_wait_loadcnt 0x0
	v_fmac_f64_e32 v[10:11], v[2:3], v[6:7]
	v_fmac_f64_e32 v[12:13], v[4:5], v[6:7]
	s_delay_alu instid0(VALU_DEP_2) | instskip(NEXT) | instid1(VALU_DEP_2)
	v_fma_f64 v[10:11], -v[4:5], v[8:9], v[10:11]
	v_fmac_f64_e32 v[12:13], v[2:3], v[8:9]
	global_store_b128 v0, v[10:13], s[2:3] scale_offset
.LBB135_33:
	s_endpgm
	.section	.rodata,"a",@progbits
	.p2align	6, 0x0
	.amdhsa_kernel _ZN9rocsparseL22gebsrmvn_mxn_16_kernelILj128ELj16ELj8E21rocsparse_complex_numIdEEEvi20rocsparse_direction_NS_24const_host_device_scalarIT2_EEPKiS8_PKS5_iiSA_S6_PS5_21rocsparse_index_base_b
		.amdhsa_group_segment_fixed_size 2048
		.amdhsa_private_segment_fixed_size 0
		.amdhsa_kernarg_size 96
		.amdhsa_user_sgpr_count 2
		.amdhsa_user_sgpr_dispatch_ptr 0
		.amdhsa_user_sgpr_queue_ptr 0
		.amdhsa_user_sgpr_kernarg_segment_ptr 1
		.amdhsa_user_sgpr_dispatch_id 0
		.amdhsa_user_sgpr_kernarg_preload_length 0
		.amdhsa_user_sgpr_kernarg_preload_offset 0
		.amdhsa_user_sgpr_private_segment_size 0
		.amdhsa_wavefront_size32 1
		.amdhsa_uses_dynamic_stack 0
		.amdhsa_enable_private_segment 0
		.amdhsa_system_sgpr_workgroup_id_x 1
		.amdhsa_system_sgpr_workgroup_id_y 0
		.amdhsa_system_sgpr_workgroup_id_z 0
		.amdhsa_system_sgpr_workgroup_info 0
		.amdhsa_system_vgpr_workitem_id 0
		.amdhsa_next_free_vgpr 25
		.amdhsa_next_free_sgpr 16
		.amdhsa_named_barrier_count 0
		.amdhsa_reserve_vcc 1
		.amdhsa_float_round_mode_32 0
		.amdhsa_float_round_mode_16_64 0
		.amdhsa_float_denorm_mode_32 3
		.amdhsa_float_denorm_mode_16_64 3
		.amdhsa_fp16_overflow 0
		.amdhsa_memory_ordered 1
		.amdhsa_forward_progress 1
		.amdhsa_inst_pref_size 10
		.amdhsa_round_robin_scheduling 0
		.amdhsa_exception_fp_ieee_invalid_op 0
		.amdhsa_exception_fp_denorm_src 0
		.amdhsa_exception_fp_ieee_div_zero 0
		.amdhsa_exception_fp_ieee_overflow 0
		.amdhsa_exception_fp_ieee_underflow 0
		.amdhsa_exception_fp_ieee_inexact 0
		.amdhsa_exception_int_div_zero 0
	.end_amdhsa_kernel
	.section	.text._ZN9rocsparseL22gebsrmvn_mxn_16_kernelILj128ELj16ELj8E21rocsparse_complex_numIdEEEvi20rocsparse_direction_NS_24const_host_device_scalarIT2_EEPKiS8_PKS5_iiSA_S6_PS5_21rocsparse_index_base_b,"axG",@progbits,_ZN9rocsparseL22gebsrmvn_mxn_16_kernelILj128ELj16ELj8E21rocsparse_complex_numIdEEEvi20rocsparse_direction_NS_24const_host_device_scalarIT2_EEPKiS8_PKS5_iiSA_S6_PS5_21rocsparse_index_base_b,comdat
.Lfunc_end135:
	.size	_ZN9rocsparseL22gebsrmvn_mxn_16_kernelILj128ELj16ELj8E21rocsparse_complex_numIdEEEvi20rocsparse_direction_NS_24const_host_device_scalarIT2_EEPKiS8_PKS5_iiSA_S6_PS5_21rocsparse_index_base_b, .Lfunc_end135-_ZN9rocsparseL22gebsrmvn_mxn_16_kernelILj128ELj16ELj8E21rocsparse_complex_numIdEEEvi20rocsparse_direction_NS_24const_host_device_scalarIT2_EEPKiS8_PKS5_iiSA_S6_PS5_21rocsparse_index_base_b
                                        ; -- End function
	.set _ZN9rocsparseL22gebsrmvn_mxn_16_kernelILj128ELj16ELj8E21rocsparse_complex_numIdEEEvi20rocsparse_direction_NS_24const_host_device_scalarIT2_EEPKiS8_PKS5_iiSA_S6_PS5_21rocsparse_index_base_b.num_vgpr, 25
	.set _ZN9rocsparseL22gebsrmvn_mxn_16_kernelILj128ELj16ELj8E21rocsparse_complex_numIdEEEvi20rocsparse_direction_NS_24const_host_device_scalarIT2_EEPKiS8_PKS5_iiSA_S6_PS5_21rocsparse_index_base_b.num_agpr, 0
	.set _ZN9rocsparseL22gebsrmvn_mxn_16_kernelILj128ELj16ELj8E21rocsparse_complex_numIdEEEvi20rocsparse_direction_NS_24const_host_device_scalarIT2_EEPKiS8_PKS5_iiSA_S6_PS5_21rocsparse_index_base_b.numbered_sgpr, 16
	.set _ZN9rocsparseL22gebsrmvn_mxn_16_kernelILj128ELj16ELj8E21rocsparse_complex_numIdEEEvi20rocsparse_direction_NS_24const_host_device_scalarIT2_EEPKiS8_PKS5_iiSA_S6_PS5_21rocsparse_index_base_b.num_named_barrier, 0
	.set _ZN9rocsparseL22gebsrmvn_mxn_16_kernelILj128ELj16ELj8E21rocsparse_complex_numIdEEEvi20rocsparse_direction_NS_24const_host_device_scalarIT2_EEPKiS8_PKS5_iiSA_S6_PS5_21rocsparse_index_base_b.private_seg_size, 0
	.set _ZN9rocsparseL22gebsrmvn_mxn_16_kernelILj128ELj16ELj8E21rocsparse_complex_numIdEEEvi20rocsparse_direction_NS_24const_host_device_scalarIT2_EEPKiS8_PKS5_iiSA_S6_PS5_21rocsparse_index_base_b.uses_vcc, 1
	.set _ZN9rocsparseL22gebsrmvn_mxn_16_kernelILj128ELj16ELj8E21rocsparse_complex_numIdEEEvi20rocsparse_direction_NS_24const_host_device_scalarIT2_EEPKiS8_PKS5_iiSA_S6_PS5_21rocsparse_index_base_b.uses_flat_scratch, 0
	.set _ZN9rocsparseL22gebsrmvn_mxn_16_kernelILj128ELj16ELj8E21rocsparse_complex_numIdEEEvi20rocsparse_direction_NS_24const_host_device_scalarIT2_EEPKiS8_PKS5_iiSA_S6_PS5_21rocsparse_index_base_b.has_dyn_sized_stack, 0
	.set _ZN9rocsparseL22gebsrmvn_mxn_16_kernelILj128ELj16ELj8E21rocsparse_complex_numIdEEEvi20rocsparse_direction_NS_24const_host_device_scalarIT2_EEPKiS8_PKS5_iiSA_S6_PS5_21rocsparse_index_base_b.has_recursion, 0
	.set _ZN9rocsparseL22gebsrmvn_mxn_16_kernelILj128ELj16ELj8E21rocsparse_complex_numIdEEEvi20rocsparse_direction_NS_24const_host_device_scalarIT2_EEPKiS8_PKS5_iiSA_S6_PS5_21rocsparse_index_base_b.has_indirect_call, 0
	.section	.AMDGPU.csdata,"",@progbits
; Kernel info:
; codeLenInByte = 1176
; TotalNumSgprs: 18
; NumVgprs: 25
; ScratchSize: 0
; MemoryBound: 0
; FloatMode: 240
; IeeeMode: 1
; LDSByteSize: 2048 bytes/workgroup (compile time only)
; SGPRBlocks: 0
; VGPRBlocks: 1
; NumSGPRsForWavesPerEU: 18
; NumVGPRsForWavesPerEU: 25
; NamedBarCnt: 0
; Occupancy: 16
; WaveLimiterHint : 1
; COMPUTE_PGM_RSRC2:SCRATCH_EN: 0
; COMPUTE_PGM_RSRC2:USER_SGPR: 2
; COMPUTE_PGM_RSRC2:TRAP_HANDLER: 0
; COMPUTE_PGM_RSRC2:TGID_X_EN: 1
; COMPUTE_PGM_RSRC2:TGID_Y_EN: 0
; COMPUTE_PGM_RSRC2:TGID_Z_EN: 0
; COMPUTE_PGM_RSRC2:TIDIG_COMP_CNT: 0
	.section	.AMDGPU.gpr_maximums,"",@progbits
	.set amdgpu.max_num_vgpr, 0
	.set amdgpu.max_num_agpr, 0
	.set amdgpu.max_num_sgpr, 0
	.section	.AMDGPU.csdata,"",@progbits
	.type	__hip_cuid_5c6529925c5f8931,@object ; @__hip_cuid_5c6529925c5f8931
	.section	.bss,"aw",@nobits
	.globl	__hip_cuid_5c6529925c5f8931
__hip_cuid_5c6529925c5f8931:
	.byte	0                               ; 0x0
	.size	__hip_cuid_5c6529925c5f8931, 1

	.ident	"AMD clang version 22.0.0git (https://github.com/RadeonOpenCompute/llvm-project roc-7.2.4 26084 f58b06dce1f9c15707c5f808fd002e18c2accf7e)"
	.section	".note.GNU-stack","",@progbits
	.addrsig
	.addrsig_sym __hip_cuid_5c6529925c5f8931
	.amdgpu_metadata
---
amdhsa.kernels:
  - .args:
      - .offset:         0
        .size:           4
        .value_kind:     by_value
      - .offset:         4
        .size:           4
        .value_kind:     by_value
      - .offset:         8
        .size:           8
        .value_kind:     by_value
      - .actual_access:  read_only
        .address_space:  global
        .offset:         16
        .size:           8
        .value_kind:     global_buffer
      - .actual_access:  read_only
        .address_space:  global
        .offset:         24
        .size:           8
        .value_kind:     global_buffer
      - .actual_access:  read_only
        .address_space:  global
        .offset:         32
        .size:           8
        .value_kind:     global_buffer
      - .offset:         40
        .size:           4
        .value_kind:     by_value
      - .offset:         44
        .size:           4
        .value_kind:     by_value
      - .actual_access:  read_only
        .address_space:  global
        .offset:         48
        .size:           8
        .value_kind:     global_buffer
      - .offset:         56
        .size:           8
        .value_kind:     by_value
      - .address_space:  global
        .offset:         64
        .size:           8
        .value_kind:     global_buffer
      - .offset:         72
        .size:           4
        .value_kind:     by_value
      - .offset:         76
        .size:           1
        .value_kind:     by_value
    .group_segment_fixed_size: 208
    .kernarg_segment_align: 8
    .kernarg_segment_size: 80
    .language:       OpenCL C
    .language_version:
      - 2
      - 0
    .max_flat_workgroup_size: 52
    .name:           _ZN9rocsparseL22gebsrmvn_mxn_16_kernelILj52ELj13ELj1EfEEvi20rocsparse_direction_NS_24const_host_device_scalarIT2_EEPKiS6_PKS3_iiS8_S4_PS3_21rocsparse_index_base_b
    .private_segment_fixed_size: 0
    .sgpr_count:     22
    .sgpr_spill_count: 0
    .symbol:         _ZN9rocsparseL22gebsrmvn_mxn_16_kernelILj52ELj13ELj1EfEEvi20rocsparse_direction_NS_24const_host_device_scalarIT2_EEPKiS6_PKS3_iiS8_S4_PS3_21rocsparse_index_base_b.kd
    .uniform_work_group_size: 1
    .uses_dynamic_stack: false
    .vgpr_count:     7
    .vgpr_spill_count: 0
    .wavefront_size: 32
  - .args:
      - .offset:         0
        .size:           4
        .value_kind:     by_value
      - .offset:         4
        .size:           4
        .value_kind:     by_value
      - .offset:         8
        .size:           8
        .value_kind:     by_value
      - .actual_access:  read_only
        .address_space:  global
        .offset:         16
        .size:           8
        .value_kind:     global_buffer
      - .actual_access:  read_only
        .address_space:  global
        .offset:         24
        .size:           8
        .value_kind:     global_buffer
      - .actual_access:  read_only
        .address_space:  global
        .offset:         32
        .size:           8
        .value_kind:     global_buffer
      - .offset:         40
        .size:           4
        .value_kind:     by_value
      - .offset:         44
        .size:           4
        .value_kind:     by_value
      - .actual_access:  read_only
        .address_space:  global
        .offset:         48
        .size:           8
        .value_kind:     global_buffer
      - .offset:         56
        .size:           8
        .value_kind:     by_value
      - .address_space:  global
        .offset:         64
        .size:           8
        .value_kind:     global_buffer
      - .offset:         72
        .size:           4
        .value_kind:     by_value
      - .offset:         76
        .size:           1
        .value_kind:     by_value
    .group_segment_fixed_size: 208
    .kernarg_segment_align: 8
    .kernarg_segment_size: 80
    .language:       OpenCL C
    .language_version:
      - 2
      - 0
    .max_flat_workgroup_size: 52
    .name:           _ZN9rocsparseL22gebsrmvn_mxn_16_kernelILj52ELj13ELj2EfEEvi20rocsparse_direction_NS_24const_host_device_scalarIT2_EEPKiS6_PKS3_iiS8_S4_PS3_21rocsparse_index_base_b
    .private_segment_fixed_size: 0
    .sgpr_count:     22
    .sgpr_spill_count: 0
    .symbol:         _ZN9rocsparseL22gebsrmvn_mxn_16_kernelILj52ELj13ELj2EfEEvi20rocsparse_direction_NS_24const_host_device_scalarIT2_EEPKiS6_PKS3_iiS8_S4_PS3_21rocsparse_index_base_b.kd
    .uniform_work_group_size: 1
    .uses_dynamic_stack: false
    .vgpr_count:     9
    .vgpr_spill_count: 0
    .wavefront_size: 32
  - .args:
      - .offset:         0
        .size:           4
        .value_kind:     by_value
      - .offset:         4
        .size:           4
        .value_kind:     by_value
      - .offset:         8
        .size:           8
        .value_kind:     by_value
      - .actual_access:  read_only
        .address_space:  global
        .offset:         16
        .size:           8
        .value_kind:     global_buffer
      - .actual_access:  read_only
        .address_space:  global
        .offset:         24
        .size:           8
        .value_kind:     global_buffer
      - .actual_access:  read_only
        .address_space:  global
        .offset:         32
        .size:           8
        .value_kind:     global_buffer
      - .offset:         40
        .size:           4
        .value_kind:     by_value
      - .offset:         44
        .size:           4
        .value_kind:     by_value
      - .actual_access:  read_only
        .address_space:  global
        .offset:         48
        .size:           8
        .value_kind:     global_buffer
      - .offset:         56
        .size:           8
        .value_kind:     by_value
      - .address_space:  global
        .offset:         64
        .size:           8
        .value_kind:     global_buffer
      - .offset:         72
        .size:           4
        .value_kind:     by_value
      - .offset:         76
        .size:           1
        .value_kind:     by_value
    .group_segment_fixed_size: 156
    .kernarg_segment_align: 8
    .kernarg_segment_size: 80
    .language:       OpenCL C
    .language_version:
      - 2
      - 0
    .max_flat_workgroup_size: 39
    .name:           _ZN9rocsparseL22gebsrmvn_mxn_16_kernelILj39ELj13ELj3EfEEvi20rocsparse_direction_NS_24const_host_device_scalarIT2_EEPKiS6_PKS3_iiS8_S4_PS3_21rocsparse_index_base_b
    .private_segment_fixed_size: 0
    .sgpr_count:     22
    .sgpr_spill_count: 0
    .symbol:         _ZN9rocsparseL22gebsrmvn_mxn_16_kernelILj39ELj13ELj3EfEEvi20rocsparse_direction_NS_24const_host_device_scalarIT2_EEPKiS6_PKS3_iiS8_S4_PS3_21rocsparse_index_base_b.kd
    .uniform_work_group_size: 1
    .uses_dynamic_stack: false
    .vgpr_count:     9
    .vgpr_spill_count: 0
    .wavefront_size: 32
  - .args:
      - .offset:         0
        .size:           4
        .value_kind:     by_value
      - .offset:         4
        .size:           4
        .value_kind:     by_value
      - .offset:         8
        .size:           8
        .value_kind:     by_value
      - .actual_access:  read_only
        .address_space:  global
        .offset:         16
        .size:           8
        .value_kind:     global_buffer
      - .actual_access:  read_only
        .address_space:  global
        .offset:         24
        .size:           8
        .value_kind:     global_buffer
      - .actual_access:  read_only
        .address_space:  global
        .offset:         32
        .size:           8
        .value_kind:     global_buffer
      - .offset:         40
        .size:           4
        .value_kind:     by_value
      - .offset:         44
        .size:           4
        .value_kind:     by_value
      - .actual_access:  read_only
        .address_space:  global
        .offset:         48
        .size:           8
        .value_kind:     global_buffer
      - .offset:         56
        .size:           8
        .value_kind:     by_value
      - .address_space:  global
        .offset:         64
        .size:           8
        .value_kind:     global_buffer
      - .offset:         72
        .size:           4
        .value_kind:     by_value
      - .offset:         76
        .size:           1
        .value_kind:     by_value
    .group_segment_fixed_size: 208
    .kernarg_segment_align: 8
    .kernarg_segment_size: 80
    .language:       OpenCL C
    .language_version:
      - 2
      - 0
    .max_flat_workgroup_size: 52
    .name:           _ZN9rocsparseL22gebsrmvn_mxn_16_kernelILj52ELj13ELj4EfEEvi20rocsparse_direction_NS_24const_host_device_scalarIT2_EEPKiS6_PKS3_iiS8_S4_PS3_21rocsparse_index_base_b
    .private_segment_fixed_size: 0
    .sgpr_count:     22
    .sgpr_spill_count: 0
    .symbol:         _ZN9rocsparseL22gebsrmvn_mxn_16_kernelILj52ELj13ELj4EfEEvi20rocsparse_direction_NS_24const_host_device_scalarIT2_EEPKiS6_PKS3_iiS8_S4_PS3_21rocsparse_index_base_b.kd
    .uniform_work_group_size: 1
    .uses_dynamic_stack: false
    .vgpr_count:     9
    .vgpr_spill_count: 0
    .wavefront_size: 32
  - .args:
      - .offset:         0
        .size:           4
        .value_kind:     by_value
      - .offset:         4
        .size:           4
        .value_kind:     by_value
      - .offset:         8
        .size:           8
        .value_kind:     by_value
      - .actual_access:  read_only
        .address_space:  global
        .offset:         16
        .size:           8
        .value_kind:     global_buffer
      - .actual_access:  read_only
        .address_space:  global
        .offset:         24
        .size:           8
        .value_kind:     global_buffer
      - .actual_access:  read_only
        .address_space:  global
        .offset:         32
        .size:           8
        .value_kind:     global_buffer
      - .offset:         40
        .size:           4
        .value_kind:     by_value
      - .offset:         44
        .size:           4
        .value_kind:     by_value
      - .actual_access:  read_only
        .address_space:  global
        .offset:         48
        .size:           8
        .value_kind:     global_buffer
      - .offset:         56
        .size:           8
        .value_kind:     by_value
      - .address_space:  global
        .offset:         64
        .size:           8
        .value_kind:     global_buffer
      - .offset:         72
        .size:           4
        .value_kind:     by_value
      - .offset:         76
        .size:           1
        .value_kind:     by_value
    .group_segment_fixed_size: 260
    .kernarg_segment_align: 8
    .kernarg_segment_size: 80
    .language:       OpenCL C
    .language_version:
      - 2
      - 0
    .max_flat_workgroup_size: 65
    .name:           _ZN9rocsparseL22gebsrmvn_mxn_16_kernelILj65ELj13ELj5EfEEvi20rocsparse_direction_NS_24const_host_device_scalarIT2_EEPKiS6_PKS3_iiS8_S4_PS3_21rocsparse_index_base_b
    .private_segment_fixed_size: 0
    .sgpr_count:     22
    .sgpr_spill_count: 0
    .symbol:         _ZN9rocsparseL22gebsrmvn_mxn_16_kernelILj65ELj13ELj5EfEEvi20rocsparse_direction_NS_24const_host_device_scalarIT2_EEPKiS6_PKS3_iiS8_S4_PS3_21rocsparse_index_base_b.kd
    .uniform_work_group_size: 1
    .uses_dynamic_stack: false
    .vgpr_count:     9
    .vgpr_spill_count: 0
    .wavefront_size: 32
  - .args:
      - .offset:         0
        .size:           4
        .value_kind:     by_value
      - .offset:         4
        .size:           4
        .value_kind:     by_value
      - .offset:         8
        .size:           8
        .value_kind:     by_value
      - .actual_access:  read_only
        .address_space:  global
        .offset:         16
        .size:           8
        .value_kind:     global_buffer
      - .actual_access:  read_only
        .address_space:  global
        .offset:         24
        .size:           8
        .value_kind:     global_buffer
      - .actual_access:  read_only
        .address_space:  global
        .offset:         32
        .size:           8
        .value_kind:     global_buffer
      - .offset:         40
        .size:           4
        .value_kind:     by_value
      - .offset:         44
        .size:           4
        .value_kind:     by_value
      - .actual_access:  read_only
        .address_space:  global
        .offset:         48
        .size:           8
        .value_kind:     global_buffer
      - .offset:         56
        .size:           8
        .value_kind:     by_value
      - .address_space:  global
        .offset:         64
        .size:           8
        .value_kind:     global_buffer
      - .offset:         72
        .size:           4
        .value_kind:     by_value
      - .offset:         76
        .size:           1
        .value_kind:     by_value
    .group_segment_fixed_size: 312
    .kernarg_segment_align: 8
    .kernarg_segment_size: 80
    .language:       OpenCL C
    .language_version:
      - 2
      - 0
    .max_flat_workgroup_size: 78
    .name:           _ZN9rocsparseL22gebsrmvn_mxn_16_kernelILj78ELj13ELj6EfEEvi20rocsparse_direction_NS_24const_host_device_scalarIT2_EEPKiS6_PKS3_iiS8_S4_PS3_21rocsparse_index_base_b
    .private_segment_fixed_size: 0
    .sgpr_count:     22
    .sgpr_spill_count: 0
    .symbol:         _ZN9rocsparseL22gebsrmvn_mxn_16_kernelILj78ELj13ELj6EfEEvi20rocsparse_direction_NS_24const_host_device_scalarIT2_EEPKiS6_PKS3_iiS8_S4_PS3_21rocsparse_index_base_b.kd
    .uniform_work_group_size: 1
    .uses_dynamic_stack: false
    .vgpr_count:     9
    .vgpr_spill_count: 0
    .wavefront_size: 32
  - .args:
      - .offset:         0
        .size:           4
        .value_kind:     by_value
      - .offset:         4
        .size:           4
        .value_kind:     by_value
      - .offset:         8
        .size:           8
        .value_kind:     by_value
      - .actual_access:  read_only
        .address_space:  global
        .offset:         16
        .size:           8
        .value_kind:     global_buffer
      - .actual_access:  read_only
        .address_space:  global
        .offset:         24
        .size:           8
        .value_kind:     global_buffer
      - .actual_access:  read_only
        .address_space:  global
        .offset:         32
        .size:           8
        .value_kind:     global_buffer
      - .offset:         40
        .size:           4
        .value_kind:     by_value
      - .offset:         44
        .size:           4
        .value_kind:     by_value
      - .actual_access:  read_only
        .address_space:  global
        .offset:         48
        .size:           8
        .value_kind:     global_buffer
      - .offset:         56
        .size:           8
        .value_kind:     by_value
      - .address_space:  global
        .offset:         64
        .size:           8
        .value_kind:     global_buffer
      - .offset:         72
        .size:           4
        .value_kind:     by_value
      - .offset:         76
        .size:           1
        .value_kind:     by_value
    .group_segment_fixed_size: 364
    .kernarg_segment_align: 8
    .kernarg_segment_size: 80
    .language:       OpenCL C
    .language_version:
      - 2
      - 0
    .max_flat_workgroup_size: 91
    .name:           _ZN9rocsparseL22gebsrmvn_mxn_16_kernelILj91ELj13ELj7EfEEvi20rocsparse_direction_NS_24const_host_device_scalarIT2_EEPKiS6_PKS3_iiS8_S4_PS3_21rocsparse_index_base_b
    .private_segment_fixed_size: 0
    .sgpr_count:     22
    .sgpr_spill_count: 0
    .symbol:         _ZN9rocsparseL22gebsrmvn_mxn_16_kernelILj91ELj13ELj7EfEEvi20rocsparse_direction_NS_24const_host_device_scalarIT2_EEPKiS6_PKS3_iiS8_S4_PS3_21rocsparse_index_base_b.kd
    .uniform_work_group_size: 1
    .uses_dynamic_stack: false
    .vgpr_count:     9
    .vgpr_spill_count: 0
    .wavefront_size: 32
  - .args:
      - .offset:         0
        .size:           4
        .value_kind:     by_value
      - .offset:         4
        .size:           4
        .value_kind:     by_value
      - .offset:         8
        .size:           8
        .value_kind:     by_value
      - .actual_access:  read_only
        .address_space:  global
        .offset:         16
        .size:           8
        .value_kind:     global_buffer
      - .actual_access:  read_only
        .address_space:  global
        .offset:         24
        .size:           8
        .value_kind:     global_buffer
      - .actual_access:  read_only
        .address_space:  global
        .offset:         32
        .size:           8
        .value_kind:     global_buffer
      - .offset:         40
        .size:           4
        .value_kind:     by_value
      - .offset:         44
        .size:           4
        .value_kind:     by_value
      - .actual_access:  read_only
        .address_space:  global
        .offset:         48
        .size:           8
        .value_kind:     global_buffer
      - .offset:         56
        .size:           8
        .value_kind:     by_value
      - .address_space:  global
        .offset:         64
        .size:           8
        .value_kind:     global_buffer
      - .offset:         72
        .size:           4
        .value_kind:     by_value
      - .offset:         76
        .size:           1
        .value_kind:     by_value
    .group_segment_fixed_size: 416
    .kernarg_segment_align: 8
    .kernarg_segment_size: 80
    .language:       OpenCL C
    .language_version:
      - 2
      - 0
    .max_flat_workgroup_size: 104
    .name:           _ZN9rocsparseL22gebsrmvn_mxn_16_kernelILj104ELj13ELj8EfEEvi20rocsparse_direction_NS_24const_host_device_scalarIT2_EEPKiS6_PKS3_iiS8_S4_PS3_21rocsparse_index_base_b
    .private_segment_fixed_size: 0
    .sgpr_count:     22
    .sgpr_spill_count: 0
    .symbol:         _ZN9rocsparseL22gebsrmvn_mxn_16_kernelILj104ELj13ELj8EfEEvi20rocsparse_direction_NS_24const_host_device_scalarIT2_EEPKiS6_PKS3_iiS8_S4_PS3_21rocsparse_index_base_b.kd
    .uniform_work_group_size: 1
    .uses_dynamic_stack: false
    .vgpr_count:     9
    .vgpr_spill_count: 0
    .wavefront_size: 32
  - .args:
      - .offset:         0
        .size:           4
        .value_kind:     by_value
      - .offset:         4
        .size:           4
        .value_kind:     by_value
      - .offset:         8
        .size:           8
        .value_kind:     by_value
      - .actual_access:  read_only
        .address_space:  global
        .offset:         16
        .size:           8
        .value_kind:     global_buffer
      - .actual_access:  read_only
        .address_space:  global
        .offset:         24
        .size:           8
        .value_kind:     global_buffer
      - .actual_access:  read_only
        .address_space:  global
        .offset:         32
        .size:           8
        .value_kind:     global_buffer
      - .offset:         40
        .size:           4
        .value_kind:     by_value
      - .offset:         44
        .size:           4
        .value_kind:     by_value
      - .actual_access:  read_only
        .address_space:  global
        .offset:         48
        .size:           8
        .value_kind:     global_buffer
      - .offset:         56
        .size:           8
        .value_kind:     by_value
      - .address_space:  global
        .offset:         64
        .size:           8
        .value_kind:     global_buffer
      - .offset:         72
        .size:           4
        .value_kind:     by_value
      - .offset:         76
        .size:           1
        .value_kind:     by_value
    .group_segment_fixed_size: 0
    .kernarg_segment_align: 8
    .kernarg_segment_size: 80
    .language:       OpenCL C
    .language_version:
      - 2
      - 0
    .max_flat_workgroup_size: 256
    .name:           _ZN9rocsparseL23gebsrmvn_general_kernelILj256ELj16EfEEvi20rocsparse_direction_NS_24const_host_device_scalarIT1_EEPKiS6_PKS3_iiS8_S4_PS3_21rocsparse_index_base_b
    .private_segment_fixed_size: 0
    .sgpr_count:     32
    .sgpr_spill_count: 0
    .symbol:         _ZN9rocsparseL23gebsrmvn_general_kernelILj256ELj16EfEEvi20rocsparse_direction_NS_24const_host_device_scalarIT1_EEPKiS6_PKS3_iiS8_S4_PS3_21rocsparse_index_base_b.kd
    .uniform_work_group_size: 1
    .uses_dynamic_stack: false
    .vgpr_count:     14
    .vgpr_spill_count: 0
    .wavefront_size: 32
  - .args:
      - .offset:         0
        .size:           4
        .value_kind:     by_value
      - .offset:         4
        .size:           4
        .value_kind:     by_value
      - .offset:         8
        .size:           8
        .value_kind:     by_value
      - .actual_access:  read_only
        .address_space:  global
        .offset:         16
        .size:           8
        .value_kind:     global_buffer
      - .actual_access:  read_only
        .address_space:  global
        .offset:         24
        .size:           8
        .value_kind:     global_buffer
      - .actual_access:  read_only
        .address_space:  global
        .offset:         32
        .size:           8
        .value_kind:     global_buffer
      - .offset:         40
        .size:           4
        .value_kind:     by_value
      - .offset:         44
        .size:           4
        .value_kind:     by_value
      - .actual_access:  read_only
        .address_space:  global
        .offset:         48
        .size:           8
        .value_kind:     global_buffer
      - .offset:         56
        .size:           8
        .value_kind:     by_value
      - .address_space:  global
        .offset:         64
        .size:           8
        .value_kind:     global_buffer
      - .offset:         72
        .size:           4
        .value_kind:     by_value
      - .offset:         76
        .size:           1
        .value_kind:     by_value
    .group_segment_fixed_size: 0
    .kernarg_segment_align: 8
    .kernarg_segment_size: 80
    .language:       OpenCL C
    .language_version:
      - 2
      - 0
    .max_flat_workgroup_size: 512
    .name:           _ZN9rocsparseL23gebsrmvn_general_kernelILj512ELj32EfEEvi20rocsparse_direction_NS_24const_host_device_scalarIT1_EEPKiS6_PKS3_iiS8_S4_PS3_21rocsparse_index_base_b
    .private_segment_fixed_size: 0
    .sgpr_count:     32
    .sgpr_spill_count: 0
    .symbol:         _ZN9rocsparseL23gebsrmvn_general_kernelILj512ELj32EfEEvi20rocsparse_direction_NS_24const_host_device_scalarIT1_EEPKiS6_PKS3_iiS8_S4_PS3_21rocsparse_index_base_b.kd
    .uniform_work_group_size: 1
    .uses_dynamic_stack: false
    .vgpr_count:     15
    .vgpr_spill_count: 0
    .wavefront_size: 32
  - .args:
      - .offset:         0
        .size:           4
        .value_kind:     by_value
      - .offset:         4
        .size:           4
        .value_kind:     by_value
      - .offset:         8
        .size:           8
        .value_kind:     by_value
      - .actual_access:  read_only
        .address_space:  global
        .offset:         16
        .size:           8
        .value_kind:     global_buffer
      - .actual_access:  read_only
        .address_space:  global
        .offset:         24
        .size:           8
        .value_kind:     global_buffer
      - .actual_access:  read_only
        .address_space:  global
        .offset:         32
        .size:           8
        .value_kind:     global_buffer
      - .offset:         40
        .size:           4
        .value_kind:     by_value
      - .offset:         44
        .size:           4
        .value_kind:     by_value
      - .actual_access:  read_only
        .address_space:  global
        .offset:         48
        .size:           8
        .value_kind:     global_buffer
      - .offset:         56
        .size:           8
        .value_kind:     by_value
      - .address_space:  global
        .offset:         64
        .size:           8
        .value_kind:     global_buffer
      - .offset:         72
        .size:           4
        .value_kind:     by_value
      - .offset:         76
        .size:           1
        .value_kind:     by_value
    .group_segment_fixed_size: 224
    .kernarg_segment_align: 8
    .kernarg_segment_size: 80
    .language:       OpenCL C
    .language_version:
      - 2
      - 0
    .max_flat_workgroup_size: 56
    .name:           _ZN9rocsparseL22gebsrmvn_mxn_16_kernelILj56ELj14ELj1EfEEvi20rocsparse_direction_NS_24const_host_device_scalarIT2_EEPKiS6_PKS3_iiS8_S4_PS3_21rocsparse_index_base_b
    .private_segment_fixed_size: 0
    .sgpr_count:     22
    .sgpr_spill_count: 0
    .symbol:         _ZN9rocsparseL22gebsrmvn_mxn_16_kernelILj56ELj14ELj1EfEEvi20rocsparse_direction_NS_24const_host_device_scalarIT2_EEPKiS6_PKS3_iiS8_S4_PS3_21rocsparse_index_base_b.kd
    .uniform_work_group_size: 1
    .uses_dynamic_stack: false
    .vgpr_count:     7
    .vgpr_spill_count: 0
    .wavefront_size: 32
  - .args:
      - .offset:         0
        .size:           4
        .value_kind:     by_value
      - .offset:         4
        .size:           4
        .value_kind:     by_value
      - .offset:         8
        .size:           8
        .value_kind:     by_value
      - .actual_access:  read_only
        .address_space:  global
        .offset:         16
        .size:           8
        .value_kind:     global_buffer
      - .actual_access:  read_only
        .address_space:  global
        .offset:         24
        .size:           8
        .value_kind:     global_buffer
      - .actual_access:  read_only
        .address_space:  global
        .offset:         32
        .size:           8
        .value_kind:     global_buffer
      - .offset:         40
        .size:           4
        .value_kind:     by_value
      - .offset:         44
        .size:           4
        .value_kind:     by_value
      - .actual_access:  read_only
        .address_space:  global
        .offset:         48
        .size:           8
        .value_kind:     global_buffer
      - .offset:         56
        .size:           8
        .value_kind:     by_value
      - .address_space:  global
        .offset:         64
        .size:           8
        .value_kind:     global_buffer
      - .offset:         72
        .size:           4
        .value_kind:     by_value
      - .offset:         76
        .size:           1
        .value_kind:     by_value
    .group_segment_fixed_size: 224
    .kernarg_segment_align: 8
    .kernarg_segment_size: 80
    .language:       OpenCL C
    .language_version:
      - 2
      - 0
    .max_flat_workgroup_size: 56
    .name:           _ZN9rocsparseL22gebsrmvn_mxn_16_kernelILj56ELj14ELj2EfEEvi20rocsparse_direction_NS_24const_host_device_scalarIT2_EEPKiS6_PKS3_iiS8_S4_PS3_21rocsparse_index_base_b
    .private_segment_fixed_size: 0
    .sgpr_count:     22
    .sgpr_spill_count: 0
    .symbol:         _ZN9rocsparseL22gebsrmvn_mxn_16_kernelILj56ELj14ELj2EfEEvi20rocsparse_direction_NS_24const_host_device_scalarIT2_EEPKiS6_PKS3_iiS8_S4_PS3_21rocsparse_index_base_b.kd
    .uniform_work_group_size: 1
    .uses_dynamic_stack: false
    .vgpr_count:     9
    .vgpr_spill_count: 0
    .wavefront_size: 32
  - .args:
      - .offset:         0
        .size:           4
        .value_kind:     by_value
      - .offset:         4
        .size:           4
        .value_kind:     by_value
      - .offset:         8
        .size:           8
        .value_kind:     by_value
      - .actual_access:  read_only
        .address_space:  global
        .offset:         16
        .size:           8
        .value_kind:     global_buffer
      - .actual_access:  read_only
        .address_space:  global
        .offset:         24
        .size:           8
        .value_kind:     global_buffer
      - .actual_access:  read_only
        .address_space:  global
        .offset:         32
        .size:           8
        .value_kind:     global_buffer
      - .offset:         40
        .size:           4
        .value_kind:     by_value
      - .offset:         44
        .size:           4
        .value_kind:     by_value
      - .actual_access:  read_only
        .address_space:  global
        .offset:         48
        .size:           8
        .value_kind:     global_buffer
      - .offset:         56
        .size:           8
        .value_kind:     by_value
      - .address_space:  global
        .offset:         64
        .size:           8
        .value_kind:     global_buffer
      - .offset:         72
        .size:           4
        .value_kind:     by_value
      - .offset:         76
        .size:           1
        .value_kind:     by_value
    .group_segment_fixed_size: 168
    .kernarg_segment_align: 8
    .kernarg_segment_size: 80
    .language:       OpenCL C
    .language_version:
      - 2
      - 0
    .max_flat_workgroup_size: 42
    .name:           _ZN9rocsparseL22gebsrmvn_mxn_16_kernelILj42ELj14ELj3EfEEvi20rocsparse_direction_NS_24const_host_device_scalarIT2_EEPKiS6_PKS3_iiS8_S4_PS3_21rocsparse_index_base_b
    .private_segment_fixed_size: 0
    .sgpr_count:     22
    .sgpr_spill_count: 0
    .symbol:         _ZN9rocsparseL22gebsrmvn_mxn_16_kernelILj42ELj14ELj3EfEEvi20rocsparse_direction_NS_24const_host_device_scalarIT2_EEPKiS6_PKS3_iiS8_S4_PS3_21rocsparse_index_base_b.kd
    .uniform_work_group_size: 1
    .uses_dynamic_stack: false
    .vgpr_count:     9
    .vgpr_spill_count: 0
    .wavefront_size: 32
  - .args:
      - .offset:         0
        .size:           4
        .value_kind:     by_value
      - .offset:         4
        .size:           4
        .value_kind:     by_value
      - .offset:         8
        .size:           8
        .value_kind:     by_value
      - .actual_access:  read_only
        .address_space:  global
        .offset:         16
        .size:           8
        .value_kind:     global_buffer
      - .actual_access:  read_only
        .address_space:  global
        .offset:         24
        .size:           8
        .value_kind:     global_buffer
      - .actual_access:  read_only
        .address_space:  global
        .offset:         32
        .size:           8
        .value_kind:     global_buffer
      - .offset:         40
        .size:           4
        .value_kind:     by_value
      - .offset:         44
        .size:           4
        .value_kind:     by_value
      - .actual_access:  read_only
        .address_space:  global
        .offset:         48
        .size:           8
        .value_kind:     global_buffer
      - .offset:         56
        .size:           8
        .value_kind:     by_value
      - .address_space:  global
        .offset:         64
        .size:           8
        .value_kind:     global_buffer
      - .offset:         72
        .size:           4
        .value_kind:     by_value
      - .offset:         76
        .size:           1
        .value_kind:     by_value
    .group_segment_fixed_size: 224
    .kernarg_segment_align: 8
    .kernarg_segment_size: 80
    .language:       OpenCL C
    .language_version:
      - 2
      - 0
    .max_flat_workgroup_size: 56
    .name:           _ZN9rocsparseL22gebsrmvn_mxn_16_kernelILj56ELj14ELj4EfEEvi20rocsparse_direction_NS_24const_host_device_scalarIT2_EEPKiS6_PKS3_iiS8_S4_PS3_21rocsparse_index_base_b
    .private_segment_fixed_size: 0
    .sgpr_count:     22
    .sgpr_spill_count: 0
    .symbol:         _ZN9rocsparseL22gebsrmvn_mxn_16_kernelILj56ELj14ELj4EfEEvi20rocsparse_direction_NS_24const_host_device_scalarIT2_EEPKiS6_PKS3_iiS8_S4_PS3_21rocsparse_index_base_b.kd
    .uniform_work_group_size: 1
    .uses_dynamic_stack: false
    .vgpr_count:     9
    .vgpr_spill_count: 0
    .wavefront_size: 32
  - .args:
      - .offset:         0
        .size:           4
        .value_kind:     by_value
      - .offset:         4
        .size:           4
        .value_kind:     by_value
      - .offset:         8
        .size:           8
        .value_kind:     by_value
      - .actual_access:  read_only
        .address_space:  global
        .offset:         16
        .size:           8
        .value_kind:     global_buffer
      - .actual_access:  read_only
        .address_space:  global
        .offset:         24
        .size:           8
        .value_kind:     global_buffer
      - .actual_access:  read_only
        .address_space:  global
        .offset:         32
        .size:           8
        .value_kind:     global_buffer
      - .offset:         40
        .size:           4
        .value_kind:     by_value
      - .offset:         44
        .size:           4
        .value_kind:     by_value
      - .actual_access:  read_only
        .address_space:  global
        .offset:         48
        .size:           8
        .value_kind:     global_buffer
      - .offset:         56
        .size:           8
        .value_kind:     by_value
      - .address_space:  global
        .offset:         64
        .size:           8
        .value_kind:     global_buffer
      - .offset:         72
        .size:           4
        .value_kind:     by_value
      - .offset:         76
        .size:           1
        .value_kind:     by_value
    .group_segment_fixed_size: 280
    .kernarg_segment_align: 8
    .kernarg_segment_size: 80
    .language:       OpenCL C
    .language_version:
      - 2
      - 0
    .max_flat_workgroup_size: 70
    .name:           _ZN9rocsparseL22gebsrmvn_mxn_16_kernelILj70ELj14ELj5EfEEvi20rocsparse_direction_NS_24const_host_device_scalarIT2_EEPKiS6_PKS3_iiS8_S4_PS3_21rocsparse_index_base_b
    .private_segment_fixed_size: 0
    .sgpr_count:     22
    .sgpr_spill_count: 0
    .symbol:         _ZN9rocsparseL22gebsrmvn_mxn_16_kernelILj70ELj14ELj5EfEEvi20rocsparse_direction_NS_24const_host_device_scalarIT2_EEPKiS6_PKS3_iiS8_S4_PS3_21rocsparse_index_base_b.kd
    .uniform_work_group_size: 1
    .uses_dynamic_stack: false
    .vgpr_count:     9
    .vgpr_spill_count: 0
    .wavefront_size: 32
  - .args:
      - .offset:         0
        .size:           4
        .value_kind:     by_value
      - .offset:         4
        .size:           4
        .value_kind:     by_value
      - .offset:         8
        .size:           8
        .value_kind:     by_value
      - .actual_access:  read_only
        .address_space:  global
        .offset:         16
        .size:           8
        .value_kind:     global_buffer
      - .actual_access:  read_only
        .address_space:  global
        .offset:         24
        .size:           8
        .value_kind:     global_buffer
      - .actual_access:  read_only
        .address_space:  global
        .offset:         32
        .size:           8
        .value_kind:     global_buffer
      - .offset:         40
        .size:           4
        .value_kind:     by_value
      - .offset:         44
        .size:           4
        .value_kind:     by_value
      - .actual_access:  read_only
        .address_space:  global
        .offset:         48
        .size:           8
        .value_kind:     global_buffer
      - .offset:         56
        .size:           8
        .value_kind:     by_value
      - .address_space:  global
        .offset:         64
        .size:           8
        .value_kind:     global_buffer
      - .offset:         72
        .size:           4
        .value_kind:     by_value
      - .offset:         76
        .size:           1
        .value_kind:     by_value
    .group_segment_fixed_size: 336
    .kernarg_segment_align: 8
    .kernarg_segment_size: 80
    .language:       OpenCL C
    .language_version:
      - 2
      - 0
    .max_flat_workgroup_size: 84
    .name:           _ZN9rocsparseL22gebsrmvn_mxn_16_kernelILj84ELj14ELj6EfEEvi20rocsparse_direction_NS_24const_host_device_scalarIT2_EEPKiS6_PKS3_iiS8_S4_PS3_21rocsparse_index_base_b
    .private_segment_fixed_size: 0
    .sgpr_count:     22
    .sgpr_spill_count: 0
    .symbol:         _ZN9rocsparseL22gebsrmvn_mxn_16_kernelILj84ELj14ELj6EfEEvi20rocsparse_direction_NS_24const_host_device_scalarIT2_EEPKiS6_PKS3_iiS8_S4_PS3_21rocsparse_index_base_b.kd
    .uniform_work_group_size: 1
    .uses_dynamic_stack: false
    .vgpr_count:     9
    .vgpr_spill_count: 0
    .wavefront_size: 32
  - .args:
      - .offset:         0
        .size:           4
        .value_kind:     by_value
      - .offset:         4
        .size:           4
        .value_kind:     by_value
      - .offset:         8
        .size:           8
        .value_kind:     by_value
      - .actual_access:  read_only
        .address_space:  global
        .offset:         16
        .size:           8
        .value_kind:     global_buffer
      - .actual_access:  read_only
        .address_space:  global
        .offset:         24
        .size:           8
        .value_kind:     global_buffer
      - .actual_access:  read_only
        .address_space:  global
        .offset:         32
        .size:           8
        .value_kind:     global_buffer
      - .offset:         40
        .size:           4
        .value_kind:     by_value
      - .offset:         44
        .size:           4
        .value_kind:     by_value
      - .actual_access:  read_only
        .address_space:  global
        .offset:         48
        .size:           8
        .value_kind:     global_buffer
      - .offset:         56
        .size:           8
        .value_kind:     by_value
      - .address_space:  global
        .offset:         64
        .size:           8
        .value_kind:     global_buffer
      - .offset:         72
        .size:           4
        .value_kind:     by_value
      - .offset:         76
        .size:           1
        .value_kind:     by_value
    .group_segment_fixed_size: 392
    .kernarg_segment_align: 8
    .kernarg_segment_size: 80
    .language:       OpenCL C
    .language_version:
      - 2
      - 0
    .max_flat_workgroup_size: 98
    .name:           _ZN9rocsparseL22gebsrmvn_mxn_16_kernelILj98ELj14ELj7EfEEvi20rocsparse_direction_NS_24const_host_device_scalarIT2_EEPKiS6_PKS3_iiS8_S4_PS3_21rocsparse_index_base_b
    .private_segment_fixed_size: 0
    .sgpr_count:     22
    .sgpr_spill_count: 0
    .symbol:         _ZN9rocsparseL22gebsrmvn_mxn_16_kernelILj98ELj14ELj7EfEEvi20rocsparse_direction_NS_24const_host_device_scalarIT2_EEPKiS6_PKS3_iiS8_S4_PS3_21rocsparse_index_base_b.kd
    .uniform_work_group_size: 1
    .uses_dynamic_stack: false
    .vgpr_count:     9
    .vgpr_spill_count: 0
    .wavefront_size: 32
  - .args:
      - .offset:         0
        .size:           4
        .value_kind:     by_value
      - .offset:         4
        .size:           4
        .value_kind:     by_value
      - .offset:         8
        .size:           8
        .value_kind:     by_value
      - .actual_access:  read_only
        .address_space:  global
        .offset:         16
        .size:           8
        .value_kind:     global_buffer
      - .actual_access:  read_only
        .address_space:  global
        .offset:         24
        .size:           8
        .value_kind:     global_buffer
      - .actual_access:  read_only
        .address_space:  global
        .offset:         32
        .size:           8
        .value_kind:     global_buffer
      - .offset:         40
        .size:           4
        .value_kind:     by_value
      - .offset:         44
        .size:           4
        .value_kind:     by_value
      - .actual_access:  read_only
        .address_space:  global
        .offset:         48
        .size:           8
        .value_kind:     global_buffer
      - .offset:         56
        .size:           8
        .value_kind:     by_value
      - .address_space:  global
        .offset:         64
        .size:           8
        .value_kind:     global_buffer
      - .offset:         72
        .size:           4
        .value_kind:     by_value
      - .offset:         76
        .size:           1
        .value_kind:     by_value
    .group_segment_fixed_size: 448
    .kernarg_segment_align: 8
    .kernarg_segment_size: 80
    .language:       OpenCL C
    .language_version:
      - 2
      - 0
    .max_flat_workgroup_size: 112
    .name:           _ZN9rocsparseL22gebsrmvn_mxn_16_kernelILj112ELj14ELj8EfEEvi20rocsparse_direction_NS_24const_host_device_scalarIT2_EEPKiS6_PKS3_iiS8_S4_PS3_21rocsparse_index_base_b
    .private_segment_fixed_size: 0
    .sgpr_count:     22
    .sgpr_spill_count: 0
    .symbol:         _ZN9rocsparseL22gebsrmvn_mxn_16_kernelILj112ELj14ELj8EfEEvi20rocsparse_direction_NS_24const_host_device_scalarIT2_EEPKiS6_PKS3_iiS8_S4_PS3_21rocsparse_index_base_b.kd
    .uniform_work_group_size: 1
    .uses_dynamic_stack: false
    .vgpr_count:     9
    .vgpr_spill_count: 0
    .wavefront_size: 32
  - .args:
      - .offset:         0
        .size:           4
        .value_kind:     by_value
      - .offset:         4
        .size:           4
        .value_kind:     by_value
      - .offset:         8
        .size:           8
        .value_kind:     by_value
      - .actual_access:  read_only
        .address_space:  global
        .offset:         16
        .size:           8
        .value_kind:     global_buffer
      - .actual_access:  read_only
        .address_space:  global
        .offset:         24
        .size:           8
        .value_kind:     global_buffer
      - .actual_access:  read_only
        .address_space:  global
        .offset:         32
        .size:           8
        .value_kind:     global_buffer
      - .offset:         40
        .size:           4
        .value_kind:     by_value
      - .offset:         44
        .size:           4
        .value_kind:     by_value
      - .actual_access:  read_only
        .address_space:  global
        .offset:         48
        .size:           8
        .value_kind:     global_buffer
      - .offset:         56
        .size:           8
        .value_kind:     by_value
      - .address_space:  global
        .offset:         64
        .size:           8
        .value_kind:     global_buffer
      - .offset:         72
        .size:           4
        .value_kind:     by_value
      - .offset:         76
        .size:           1
        .value_kind:     by_value
    .group_segment_fixed_size: 240
    .kernarg_segment_align: 8
    .kernarg_segment_size: 80
    .language:       OpenCL C
    .language_version:
      - 2
      - 0
    .max_flat_workgroup_size: 60
    .name:           _ZN9rocsparseL22gebsrmvn_mxn_16_kernelILj60ELj15ELj1EfEEvi20rocsparse_direction_NS_24const_host_device_scalarIT2_EEPKiS6_PKS3_iiS8_S4_PS3_21rocsparse_index_base_b
    .private_segment_fixed_size: 0
    .sgpr_count:     22
    .sgpr_spill_count: 0
    .symbol:         _ZN9rocsparseL22gebsrmvn_mxn_16_kernelILj60ELj15ELj1EfEEvi20rocsparse_direction_NS_24const_host_device_scalarIT2_EEPKiS6_PKS3_iiS8_S4_PS3_21rocsparse_index_base_b.kd
    .uniform_work_group_size: 1
    .uses_dynamic_stack: false
    .vgpr_count:     7
    .vgpr_spill_count: 0
    .wavefront_size: 32
  - .args:
      - .offset:         0
        .size:           4
        .value_kind:     by_value
      - .offset:         4
        .size:           4
        .value_kind:     by_value
      - .offset:         8
        .size:           8
        .value_kind:     by_value
      - .actual_access:  read_only
        .address_space:  global
        .offset:         16
        .size:           8
        .value_kind:     global_buffer
      - .actual_access:  read_only
        .address_space:  global
        .offset:         24
        .size:           8
        .value_kind:     global_buffer
      - .actual_access:  read_only
        .address_space:  global
        .offset:         32
        .size:           8
        .value_kind:     global_buffer
      - .offset:         40
        .size:           4
        .value_kind:     by_value
      - .offset:         44
        .size:           4
        .value_kind:     by_value
      - .actual_access:  read_only
        .address_space:  global
        .offset:         48
        .size:           8
        .value_kind:     global_buffer
      - .offset:         56
        .size:           8
        .value_kind:     by_value
      - .address_space:  global
        .offset:         64
        .size:           8
        .value_kind:     global_buffer
      - .offset:         72
        .size:           4
        .value_kind:     by_value
      - .offset:         76
        .size:           1
        .value_kind:     by_value
    .group_segment_fixed_size: 240
    .kernarg_segment_align: 8
    .kernarg_segment_size: 80
    .language:       OpenCL C
    .language_version:
      - 2
      - 0
    .max_flat_workgroup_size: 60
    .name:           _ZN9rocsparseL22gebsrmvn_mxn_16_kernelILj60ELj15ELj2EfEEvi20rocsparse_direction_NS_24const_host_device_scalarIT2_EEPKiS6_PKS3_iiS8_S4_PS3_21rocsparse_index_base_b
    .private_segment_fixed_size: 0
    .sgpr_count:     22
    .sgpr_spill_count: 0
    .symbol:         _ZN9rocsparseL22gebsrmvn_mxn_16_kernelILj60ELj15ELj2EfEEvi20rocsparse_direction_NS_24const_host_device_scalarIT2_EEPKiS6_PKS3_iiS8_S4_PS3_21rocsparse_index_base_b.kd
    .uniform_work_group_size: 1
    .uses_dynamic_stack: false
    .vgpr_count:     9
    .vgpr_spill_count: 0
    .wavefront_size: 32
  - .args:
      - .offset:         0
        .size:           4
        .value_kind:     by_value
      - .offset:         4
        .size:           4
        .value_kind:     by_value
      - .offset:         8
        .size:           8
        .value_kind:     by_value
      - .actual_access:  read_only
        .address_space:  global
        .offset:         16
        .size:           8
        .value_kind:     global_buffer
      - .actual_access:  read_only
        .address_space:  global
        .offset:         24
        .size:           8
        .value_kind:     global_buffer
      - .actual_access:  read_only
        .address_space:  global
        .offset:         32
        .size:           8
        .value_kind:     global_buffer
      - .offset:         40
        .size:           4
        .value_kind:     by_value
      - .offset:         44
        .size:           4
        .value_kind:     by_value
      - .actual_access:  read_only
        .address_space:  global
        .offset:         48
        .size:           8
        .value_kind:     global_buffer
      - .offset:         56
        .size:           8
        .value_kind:     by_value
      - .address_space:  global
        .offset:         64
        .size:           8
        .value_kind:     global_buffer
      - .offset:         72
        .size:           4
        .value_kind:     by_value
      - .offset:         76
        .size:           1
        .value_kind:     by_value
    .group_segment_fixed_size: 180
    .kernarg_segment_align: 8
    .kernarg_segment_size: 80
    .language:       OpenCL C
    .language_version:
      - 2
      - 0
    .max_flat_workgroup_size: 45
    .name:           _ZN9rocsparseL22gebsrmvn_mxn_16_kernelILj45ELj15ELj3EfEEvi20rocsparse_direction_NS_24const_host_device_scalarIT2_EEPKiS6_PKS3_iiS8_S4_PS3_21rocsparse_index_base_b
    .private_segment_fixed_size: 0
    .sgpr_count:     22
    .sgpr_spill_count: 0
    .symbol:         _ZN9rocsparseL22gebsrmvn_mxn_16_kernelILj45ELj15ELj3EfEEvi20rocsparse_direction_NS_24const_host_device_scalarIT2_EEPKiS6_PKS3_iiS8_S4_PS3_21rocsparse_index_base_b.kd
    .uniform_work_group_size: 1
    .uses_dynamic_stack: false
    .vgpr_count:     9
    .vgpr_spill_count: 0
    .wavefront_size: 32
  - .args:
      - .offset:         0
        .size:           4
        .value_kind:     by_value
      - .offset:         4
        .size:           4
        .value_kind:     by_value
      - .offset:         8
        .size:           8
        .value_kind:     by_value
      - .actual_access:  read_only
        .address_space:  global
        .offset:         16
        .size:           8
        .value_kind:     global_buffer
      - .actual_access:  read_only
        .address_space:  global
        .offset:         24
        .size:           8
        .value_kind:     global_buffer
      - .actual_access:  read_only
        .address_space:  global
        .offset:         32
        .size:           8
        .value_kind:     global_buffer
      - .offset:         40
        .size:           4
        .value_kind:     by_value
      - .offset:         44
        .size:           4
        .value_kind:     by_value
      - .actual_access:  read_only
        .address_space:  global
        .offset:         48
        .size:           8
        .value_kind:     global_buffer
      - .offset:         56
        .size:           8
        .value_kind:     by_value
      - .address_space:  global
        .offset:         64
        .size:           8
        .value_kind:     global_buffer
      - .offset:         72
        .size:           4
        .value_kind:     by_value
      - .offset:         76
        .size:           1
        .value_kind:     by_value
    .group_segment_fixed_size: 240
    .kernarg_segment_align: 8
    .kernarg_segment_size: 80
    .language:       OpenCL C
    .language_version:
      - 2
      - 0
    .max_flat_workgroup_size: 60
    .name:           _ZN9rocsparseL22gebsrmvn_mxn_16_kernelILj60ELj15ELj4EfEEvi20rocsparse_direction_NS_24const_host_device_scalarIT2_EEPKiS6_PKS3_iiS8_S4_PS3_21rocsparse_index_base_b
    .private_segment_fixed_size: 0
    .sgpr_count:     22
    .sgpr_spill_count: 0
    .symbol:         _ZN9rocsparseL22gebsrmvn_mxn_16_kernelILj60ELj15ELj4EfEEvi20rocsparse_direction_NS_24const_host_device_scalarIT2_EEPKiS6_PKS3_iiS8_S4_PS3_21rocsparse_index_base_b.kd
    .uniform_work_group_size: 1
    .uses_dynamic_stack: false
    .vgpr_count:     9
    .vgpr_spill_count: 0
    .wavefront_size: 32
  - .args:
      - .offset:         0
        .size:           4
        .value_kind:     by_value
      - .offset:         4
        .size:           4
        .value_kind:     by_value
      - .offset:         8
        .size:           8
        .value_kind:     by_value
      - .actual_access:  read_only
        .address_space:  global
        .offset:         16
        .size:           8
        .value_kind:     global_buffer
      - .actual_access:  read_only
        .address_space:  global
        .offset:         24
        .size:           8
        .value_kind:     global_buffer
      - .actual_access:  read_only
        .address_space:  global
        .offset:         32
        .size:           8
        .value_kind:     global_buffer
      - .offset:         40
        .size:           4
        .value_kind:     by_value
      - .offset:         44
        .size:           4
        .value_kind:     by_value
      - .actual_access:  read_only
        .address_space:  global
        .offset:         48
        .size:           8
        .value_kind:     global_buffer
      - .offset:         56
        .size:           8
        .value_kind:     by_value
      - .address_space:  global
        .offset:         64
        .size:           8
        .value_kind:     global_buffer
      - .offset:         72
        .size:           4
        .value_kind:     by_value
      - .offset:         76
        .size:           1
        .value_kind:     by_value
    .group_segment_fixed_size: 300
    .kernarg_segment_align: 8
    .kernarg_segment_size: 80
    .language:       OpenCL C
    .language_version:
      - 2
      - 0
    .max_flat_workgroup_size: 75
    .name:           _ZN9rocsparseL22gebsrmvn_mxn_16_kernelILj75ELj15ELj5EfEEvi20rocsparse_direction_NS_24const_host_device_scalarIT2_EEPKiS6_PKS3_iiS8_S4_PS3_21rocsparse_index_base_b
    .private_segment_fixed_size: 0
    .sgpr_count:     22
    .sgpr_spill_count: 0
    .symbol:         _ZN9rocsparseL22gebsrmvn_mxn_16_kernelILj75ELj15ELj5EfEEvi20rocsparse_direction_NS_24const_host_device_scalarIT2_EEPKiS6_PKS3_iiS8_S4_PS3_21rocsparse_index_base_b.kd
    .uniform_work_group_size: 1
    .uses_dynamic_stack: false
    .vgpr_count:     9
    .vgpr_spill_count: 0
    .wavefront_size: 32
  - .args:
      - .offset:         0
        .size:           4
        .value_kind:     by_value
      - .offset:         4
        .size:           4
        .value_kind:     by_value
      - .offset:         8
        .size:           8
        .value_kind:     by_value
      - .actual_access:  read_only
        .address_space:  global
        .offset:         16
        .size:           8
        .value_kind:     global_buffer
      - .actual_access:  read_only
        .address_space:  global
        .offset:         24
        .size:           8
        .value_kind:     global_buffer
      - .actual_access:  read_only
        .address_space:  global
        .offset:         32
        .size:           8
        .value_kind:     global_buffer
      - .offset:         40
        .size:           4
        .value_kind:     by_value
      - .offset:         44
        .size:           4
        .value_kind:     by_value
      - .actual_access:  read_only
        .address_space:  global
        .offset:         48
        .size:           8
        .value_kind:     global_buffer
      - .offset:         56
        .size:           8
        .value_kind:     by_value
      - .address_space:  global
        .offset:         64
        .size:           8
        .value_kind:     global_buffer
      - .offset:         72
        .size:           4
        .value_kind:     by_value
      - .offset:         76
        .size:           1
        .value_kind:     by_value
    .group_segment_fixed_size: 360
    .kernarg_segment_align: 8
    .kernarg_segment_size: 80
    .language:       OpenCL C
    .language_version:
      - 2
      - 0
    .max_flat_workgroup_size: 90
    .name:           _ZN9rocsparseL22gebsrmvn_mxn_16_kernelILj90ELj15ELj6EfEEvi20rocsparse_direction_NS_24const_host_device_scalarIT2_EEPKiS6_PKS3_iiS8_S4_PS3_21rocsparse_index_base_b
    .private_segment_fixed_size: 0
    .sgpr_count:     22
    .sgpr_spill_count: 0
    .symbol:         _ZN9rocsparseL22gebsrmvn_mxn_16_kernelILj90ELj15ELj6EfEEvi20rocsparse_direction_NS_24const_host_device_scalarIT2_EEPKiS6_PKS3_iiS8_S4_PS3_21rocsparse_index_base_b.kd
    .uniform_work_group_size: 1
    .uses_dynamic_stack: false
    .vgpr_count:     9
    .vgpr_spill_count: 0
    .wavefront_size: 32
  - .args:
      - .offset:         0
        .size:           4
        .value_kind:     by_value
      - .offset:         4
        .size:           4
        .value_kind:     by_value
      - .offset:         8
        .size:           8
        .value_kind:     by_value
      - .actual_access:  read_only
        .address_space:  global
        .offset:         16
        .size:           8
        .value_kind:     global_buffer
      - .actual_access:  read_only
        .address_space:  global
        .offset:         24
        .size:           8
        .value_kind:     global_buffer
      - .actual_access:  read_only
        .address_space:  global
        .offset:         32
        .size:           8
        .value_kind:     global_buffer
      - .offset:         40
        .size:           4
        .value_kind:     by_value
      - .offset:         44
        .size:           4
        .value_kind:     by_value
      - .actual_access:  read_only
        .address_space:  global
        .offset:         48
        .size:           8
        .value_kind:     global_buffer
      - .offset:         56
        .size:           8
        .value_kind:     by_value
      - .address_space:  global
        .offset:         64
        .size:           8
        .value_kind:     global_buffer
      - .offset:         72
        .size:           4
        .value_kind:     by_value
      - .offset:         76
        .size:           1
        .value_kind:     by_value
    .group_segment_fixed_size: 420
    .kernarg_segment_align: 8
    .kernarg_segment_size: 80
    .language:       OpenCL C
    .language_version:
      - 2
      - 0
    .max_flat_workgroup_size: 105
    .name:           _ZN9rocsparseL22gebsrmvn_mxn_16_kernelILj105ELj15ELj7EfEEvi20rocsparse_direction_NS_24const_host_device_scalarIT2_EEPKiS6_PKS3_iiS8_S4_PS3_21rocsparse_index_base_b
    .private_segment_fixed_size: 0
    .sgpr_count:     22
    .sgpr_spill_count: 0
    .symbol:         _ZN9rocsparseL22gebsrmvn_mxn_16_kernelILj105ELj15ELj7EfEEvi20rocsparse_direction_NS_24const_host_device_scalarIT2_EEPKiS6_PKS3_iiS8_S4_PS3_21rocsparse_index_base_b.kd
    .uniform_work_group_size: 1
    .uses_dynamic_stack: false
    .vgpr_count:     9
    .vgpr_spill_count: 0
    .wavefront_size: 32
  - .args:
      - .offset:         0
        .size:           4
        .value_kind:     by_value
      - .offset:         4
        .size:           4
        .value_kind:     by_value
      - .offset:         8
        .size:           8
        .value_kind:     by_value
      - .actual_access:  read_only
        .address_space:  global
        .offset:         16
        .size:           8
        .value_kind:     global_buffer
      - .actual_access:  read_only
        .address_space:  global
        .offset:         24
        .size:           8
        .value_kind:     global_buffer
      - .actual_access:  read_only
        .address_space:  global
        .offset:         32
        .size:           8
        .value_kind:     global_buffer
      - .offset:         40
        .size:           4
        .value_kind:     by_value
      - .offset:         44
        .size:           4
        .value_kind:     by_value
      - .actual_access:  read_only
        .address_space:  global
        .offset:         48
        .size:           8
        .value_kind:     global_buffer
      - .offset:         56
        .size:           8
        .value_kind:     by_value
      - .address_space:  global
        .offset:         64
        .size:           8
        .value_kind:     global_buffer
      - .offset:         72
        .size:           4
        .value_kind:     by_value
      - .offset:         76
        .size:           1
        .value_kind:     by_value
    .group_segment_fixed_size: 480
    .kernarg_segment_align: 8
    .kernarg_segment_size: 80
    .language:       OpenCL C
    .language_version:
      - 2
      - 0
    .max_flat_workgroup_size: 120
    .name:           _ZN9rocsparseL22gebsrmvn_mxn_16_kernelILj120ELj15ELj8EfEEvi20rocsparse_direction_NS_24const_host_device_scalarIT2_EEPKiS6_PKS3_iiS8_S4_PS3_21rocsparse_index_base_b
    .private_segment_fixed_size: 0
    .sgpr_count:     22
    .sgpr_spill_count: 0
    .symbol:         _ZN9rocsparseL22gebsrmvn_mxn_16_kernelILj120ELj15ELj8EfEEvi20rocsparse_direction_NS_24const_host_device_scalarIT2_EEPKiS6_PKS3_iiS8_S4_PS3_21rocsparse_index_base_b.kd
    .uniform_work_group_size: 1
    .uses_dynamic_stack: false
    .vgpr_count:     9
    .vgpr_spill_count: 0
    .wavefront_size: 32
  - .args:
      - .offset:         0
        .size:           4
        .value_kind:     by_value
      - .offset:         4
        .size:           4
        .value_kind:     by_value
      - .offset:         8
        .size:           8
        .value_kind:     by_value
      - .actual_access:  read_only
        .address_space:  global
        .offset:         16
        .size:           8
        .value_kind:     global_buffer
      - .actual_access:  read_only
        .address_space:  global
        .offset:         24
        .size:           8
        .value_kind:     global_buffer
      - .actual_access:  read_only
        .address_space:  global
        .offset:         32
        .size:           8
        .value_kind:     global_buffer
      - .offset:         40
        .size:           4
        .value_kind:     by_value
      - .offset:         44
        .size:           4
        .value_kind:     by_value
      - .actual_access:  read_only
        .address_space:  global
        .offset:         48
        .size:           8
        .value_kind:     global_buffer
      - .offset:         56
        .size:           8
        .value_kind:     by_value
      - .address_space:  global
        .offset:         64
        .size:           8
        .value_kind:     global_buffer
      - .offset:         72
        .size:           4
        .value_kind:     by_value
      - .offset:         76
        .size:           1
        .value_kind:     by_value
    .group_segment_fixed_size: 256
    .kernarg_segment_align: 8
    .kernarg_segment_size: 80
    .language:       OpenCL C
    .language_version:
      - 2
      - 0
    .max_flat_workgroup_size: 64
    .name:           _ZN9rocsparseL22gebsrmvn_mxn_16_kernelILj64ELj16ELj1EfEEvi20rocsparse_direction_NS_24const_host_device_scalarIT2_EEPKiS6_PKS3_iiS8_S4_PS3_21rocsparse_index_base_b
    .private_segment_fixed_size: 0
    .sgpr_count:     22
    .sgpr_spill_count: 0
    .symbol:         _ZN9rocsparseL22gebsrmvn_mxn_16_kernelILj64ELj16ELj1EfEEvi20rocsparse_direction_NS_24const_host_device_scalarIT2_EEPKiS6_PKS3_iiS8_S4_PS3_21rocsparse_index_base_b.kd
    .uniform_work_group_size: 1
    .uses_dynamic_stack: false
    .vgpr_count:     7
    .vgpr_spill_count: 0
    .wavefront_size: 32
  - .args:
      - .offset:         0
        .size:           4
        .value_kind:     by_value
      - .offset:         4
        .size:           4
        .value_kind:     by_value
      - .offset:         8
        .size:           8
        .value_kind:     by_value
      - .actual_access:  read_only
        .address_space:  global
        .offset:         16
        .size:           8
        .value_kind:     global_buffer
      - .actual_access:  read_only
        .address_space:  global
        .offset:         24
        .size:           8
        .value_kind:     global_buffer
      - .actual_access:  read_only
        .address_space:  global
        .offset:         32
        .size:           8
        .value_kind:     global_buffer
      - .offset:         40
        .size:           4
        .value_kind:     by_value
      - .offset:         44
        .size:           4
        .value_kind:     by_value
      - .actual_access:  read_only
        .address_space:  global
        .offset:         48
        .size:           8
        .value_kind:     global_buffer
      - .offset:         56
        .size:           8
        .value_kind:     by_value
      - .address_space:  global
        .offset:         64
        .size:           8
        .value_kind:     global_buffer
      - .offset:         72
        .size:           4
        .value_kind:     by_value
      - .offset:         76
        .size:           1
        .value_kind:     by_value
    .group_segment_fixed_size: 256
    .kernarg_segment_align: 8
    .kernarg_segment_size: 80
    .language:       OpenCL C
    .language_version:
      - 2
      - 0
    .max_flat_workgroup_size: 64
    .name:           _ZN9rocsparseL22gebsrmvn_mxn_16_kernelILj64ELj16ELj2EfEEvi20rocsparse_direction_NS_24const_host_device_scalarIT2_EEPKiS6_PKS3_iiS8_S4_PS3_21rocsparse_index_base_b
    .private_segment_fixed_size: 0
    .sgpr_count:     22
    .sgpr_spill_count: 0
    .symbol:         _ZN9rocsparseL22gebsrmvn_mxn_16_kernelILj64ELj16ELj2EfEEvi20rocsparse_direction_NS_24const_host_device_scalarIT2_EEPKiS6_PKS3_iiS8_S4_PS3_21rocsparse_index_base_b.kd
    .uniform_work_group_size: 1
    .uses_dynamic_stack: false
    .vgpr_count:     9
    .vgpr_spill_count: 0
    .wavefront_size: 32
  - .args:
      - .offset:         0
        .size:           4
        .value_kind:     by_value
      - .offset:         4
        .size:           4
        .value_kind:     by_value
      - .offset:         8
        .size:           8
        .value_kind:     by_value
      - .actual_access:  read_only
        .address_space:  global
        .offset:         16
        .size:           8
        .value_kind:     global_buffer
      - .actual_access:  read_only
        .address_space:  global
        .offset:         24
        .size:           8
        .value_kind:     global_buffer
      - .actual_access:  read_only
        .address_space:  global
        .offset:         32
        .size:           8
        .value_kind:     global_buffer
      - .offset:         40
        .size:           4
        .value_kind:     by_value
      - .offset:         44
        .size:           4
        .value_kind:     by_value
      - .actual_access:  read_only
        .address_space:  global
        .offset:         48
        .size:           8
        .value_kind:     global_buffer
      - .offset:         56
        .size:           8
        .value_kind:     by_value
      - .address_space:  global
        .offset:         64
        .size:           8
        .value_kind:     global_buffer
      - .offset:         72
        .size:           4
        .value_kind:     by_value
      - .offset:         76
        .size:           1
        .value_kind:     by_value
    .group_segment_fixed_size: 192
    .kernarg_segment_align: 8
    .kernarg_segment_size: 80
    .language:       OpenCL C
    .language_version:
      - 2
      - 0
    .max_flat_workgroup_size: 48
    .name:           _ZN9rocsparseL22gebsrmvn_mxn_16_kernelILj48ELj16ELj3EfEEvi20rocsparse_direction_NS_24const_host_device_scalarIT2_EEPKiS6_PKS3_iiS8_S4_PS3_21rocsparse_index_base_b
    .private_segment_fixed_size: 0
    .sgpr_count:     22
    .sgpr_spill_count: 0
    .symbol:         _ZN9rocsparseL22gebsrmvn_mxn_16_kernelILj48ELj16ELj3EfEEvi20rocsparse_direction_NS_24const_host_device_scalarIT2_EEPKiS6_PKS3_iiS8_S4_PS3_21rocsparse_index_base_b.kd
    .uniform_work_group_size: 1
    .uses_dynamic_stack: false
    .vgpr_count:     9
    .vgpr_spill_count: 0
    .wavefront_size: 32
  - .args:
      - .offset:         0
        .size:           4
        .value_kind:     by_value
      - .offset:         4
        .size:           4
        .value_kind:     by_value
      - .offset:         8
        .size:           8
        .value_kind:     by_value
      - .actual_access:  read_only
        .address_space:  global
        .offset:         16
        .size:           8
        .value_kind:     global_buffer
      - .actual_access:  read_only
        .address_space:  global
        .offset:         24
        .size:           8
        .value_kind:     global_buffer
      - .actual_access:  read_only
        .address_space:  global
        .offset:         32
        .size:           8
        .value_kind:     global_buffer
      - .offset:         40
        .size:           4
        .value_kind:     by_value
      - .offset:         44
        .size:           4
        .value_kind:     by_value
      - .actual_access:  read_only
        .address_space:  global
        .offset:         48
        .size:           8
        .value_kind:     global_buffer
      - .offset:         56
        .size:           8
        .value_kind:     by_value
      - .address_space:  global
        .offset:         64
        .size:           8
        .value_kind:     global_buffer
      - .offset:         72
        .size:           4
        .value_kind:     by_value
      - .offset:         76
        .size:           1
        .value_kind:     by_value
    .group_segment_fixed_size: 256
    .kernarg_segment_align: 8
    .kernarg_segment_size: 80
    .language:       OpenCL C
    .language_version:
      - 2
      - 0
    .max_flat_workgroup_size: 64
    .name:           _ZN9rocsparseL22gebsrmvn_mxn_16_kernelILj64ELj16ELj4EfEEvi20rocsparse_direction_NS_24const_host_device_scalarIT2_EEPKiS6_PKS3_iiS8_S4_PS3_21rocsparse_index_base_b
    .private_segment_fixed_size: 0
    .sgpr_count:     22
    .sgpr_spill_count: 0
    .symbol:         _ZN9rocsparseL22gebsrmvn_mxn_16_kernelILj64ELj16ELj4EfEEvi20rocsparse_direction_NS_24const_host_device_scalarIT2_EEPKiS6_PKS3_iiS8_S4_PS3_21rocsparse_index_base_b.kd
    .uniform_work_group_size: 1
    .uses_dynamic_stack: false
    .vgpr_count:     8
    .vgpr_spill_count: 0
    .wavefront_size: 32
  - .args:
      - .offset:         0
        .size:           4
        .value_kind:     by_value
      - .offset:         4
        .size:           4
        .value_kind:     by_value
      - .offset:         8
        .size:           8
        .value_kind:     by_value
      - .actual_access:  read_only
        .address_space:  global
        .offset:         16
        .size:           8
        .value_kind:     global_buffer
      - .actual_access:  read_only
        .address_space:  global
        .offset:         24
        .size:           8
        .value_kind:     global_buffer
      - .actual_access:  read_only
        .address_space:  global
        .offset:         32
        .size:           8
        .value_kind:     global_buffer
      - .offset:         40
        .size:           4
        .value_kind:     by_value
      - .offset:         44
        .size:           4
        .value_kind:     by_value
      - .actual_access:  read_only
        .address_space:  global
        .offset:         48
        .size:           8
        .value_kind:     global_buffer
      - .offset:         56
        .size:           8
        .value_kind:     by_value
      - .address_space:  global
        .offset:         64
        .size:           8
        .value_kind:     global_buffer
      - .offset:         72
        .size:           4
        .value_kind:     by_value
      - .offset:         76
        .size:           1
        .value_kind:     by_value
    .group_segment_fixed_size: 320
    .kernarg_segment_align: 8
    .kernarg_segment_size: 80
    .language:       OpenCL C
    .language_version:
      - 2
      - 0
    .max_flat_workgroup_size: 80
    .name:           _ZN9rocsparseL22gebsrmvn_mxn_16_kernelILj80ELj16ELj5EfEEvi20rocsparse_direction_NS_24const_host_device_scalarIT2_EEPKiS6_PKS3_iiS8_S4_PS3_21rocsparse_index_base_b
    .private_segment_fixed_size: 0
    .sgpr_count:     22
    .sgpr_spill_count: 0
    .symbol:         _ZN9rocsparseL22gebsrmvn_mxn_16_kernelILj80ELj16ELj5EfEEvi20rocsparse_direction_NS_24const_host_device_scalarIT2_EEPKiS6_PKS3_iiS8_S4_PS3_21rocsparse_index_base_b.kd
    .uniform_work_group_size: 1
    .uses_dynamic_stack: false
    .vgpr_count:     9
    .vgpr_spill_count: 0
    .wavefront_size: 32
  - .args:
      - .offset:         0
        .size:           4
        .value_kind:     by_value
      - .offset:         4
        .size:           4
        .value_kind:     by_value
      - .offset:         8
        .size:           8
        .value_kind:     by_value
      - .actual_access:  read_only
        .address_space:  global
        .offset:         16
        .size:           8
        .value_kind:     global_buffer
      - .actual_access:  read_only
        .address_space:  global
        .offset:         24
        .size:           8
        .value_kind:     global_buffer
      - .actual_access:  read_only
        .address_space:  global
        .offset:         32
        .size:           8
        .value_kind:     global_buffer
      - .offset:         40
        .size:           4
        .value_kind:     by_value
      - .offset:         44
        .size:           4
        .value_kind:     by_value
      - .actual_access:  read_only
        .address_space:  global
        .offset:         48
        .size:           8
        .value_kind:     global_buffer
      - .offset:         56
        .size:           8
        .value_kind:     by_value
      - .address_space:  global
        .offset:         64
        .size:           8
        .value_kind:     global_buffer
      - .offset:         72
        .size:           4
        .value_kind:     by_value
      - .offset:         76
        .size:           1
        .value_kind:     by_value
    .group_segment_fixed_size: 384
    .kernarg_segment_align: 8
    .kernarg_segment_size: 80
    .language:       OpenCL C
    .language_version:
      - 2
      - 0
    .max_flat_workgroup_size: 96
    .name:           _ZN9rocsparseL22gebsrmvn_mxn_16_kernelILj96ELj16ELj6EfEEvi20rocsparse_direction_NS_24const_host_device_scalarIT2_EEPKiS6_PKS3_iiS8_S4_PS3_21rocsparse_index_base_b
    .private_segment_fixed_size: 0
    .sgpr_count:     22
    .sgpr_spill_count: 0
    .symbol:         _ZN9rocsparseL22gebsrmvn_mxn_16_kernelILj96ELj16ELj6EfEEvi20rocsparse_direction_NS_24const_host_device_scalarIT2_EEPKiS6_PKS3_iiS8_S4_PS3_21rocsparse_index_base_b.kd
    .uniform_work_group_size: 1
    .uses_dynamic_stack: false
    .vgpr_count:     9
    .vgpr_spill_count: 0
    .wavefront_size: 32
  - .args:
      - .offset:         0
        .size:           4
        .value_kind:     by_value
      - .offset:         4
        .size:           4
        .value_kind:     by_value
      - .offset:         8
        .size:           8
        .value_kind:     by_value
      - .actual_access:  read_only
        .address_space:  global
        .offset:         16
        .size:           8
        .value_kind:     global_buffer
      - .actual_access:  read_only
        .address_space:  global
        .offset:         24
        .size:           8
        .value_kind:     global_buffer
      - .actual_access:  read_only
        .address_space:  global
        .offset:         32
        .size:           8
        .value_kind:     global_buffer
      - .offset:         40
        .size:           4
        .value_kind:     by_value
      - .offset:         44
        .size:           4
        .value_kind:     by_value
      - .actual_access:  read_only
        .address_space:  global
        .offset:         48
        .size:           8
        .value_kind:     global_buffer
      - .offset:         56
        .size:           8
        .value_kind:     by_value
      - .address_space:  global
        .offset:         64
        .size:           8
        .value_kind:     global_buffer
      - .offset:         72
        .size:           4
        .value_kind:     by_value
      - .offset:         76
        .size:           1
        .value_kind:     by_value
    .group_segment_fixed_size: 448
    .kernarg_segment_align: 8
    .kernarg_segment_size: 80
    .language:       OpenCL C
    .language_version:
      - 2
      - 0
    .max_flat_workgroup_size: 112
    .name:           _ZN9rocsparseL22gebsrmvn_mxn_16_kernelILj112ELj16ELj7EfEEvi20rocsparse_direction_NS_24const_host_device_scalarIT2_EEPKiS6_PKS3_iiS8_S4_PS3_21rocsparse_index_base_b
    .private_segment_fixed_size: 0
    .sgpr_count:     22
    .sgpr_spill_count: 0
    .symbol:         _ZN9rocsparseL22gebsrmvn_mxn_16_kernelILj112ELj16ELj7EfEEvi20rocsparse_direction_NS_24const_host_device_scalarIT2_EEPKiS6_PKS3_iiS8_S4_PS3_21rocsparse_index_base_b.kd
    .uniform_work_group_size: 1
    .uses_dynamic_stack: false
    .vgpr_count:     9
    .vgpr_spill_count: 0
    .wavefront_size: 32
  - .args:
      - .offset:         0
        .size:           4
        .value_kind:     by_value
      - .offset:         4
        .size:           4
        .value_kind:     by_value
      - .offset:         8
        .size:           8
        .value_kind:     by_value
      - .actual_access:  read_only
        .address_space:  global
        .offset:         16
        .size:           8
        .value_kind:     global_buffer
      - .actual_access:  read_only
        .address_space:  global
        .offset:         24
        .size:           8
        .value_kind:     global_buffer
      - .actual_access:  read_only
        .address_space:  global
        .offset:         32
        .size:           8
        .value_kind:     global_buffer
      - .offset:         40
        .size:           4
        .value_kind:     by_value
      - .offset:         44
        .size:           4
        .value_kind:     by_value
      - .actual_access:  read_only
        .address_space:  global
        .offset:         48
        .size:           8
        .value_kind:     global_buffer
      - .offset:         56
        .size:           8
        .value_kind:     by_value
      - .address_space:  global
        .offset:         64
        .size:           8
        .value_kind:     global_buffer
      - .offset:         72
        .size:           4
        .value_kind:     by_value
      - .offset:         76
        .size:           1
        .value_kind:     by_value
    .group_segment_fixed_size: 512
    .kernarg_segment_align: 8
    .kernarg_segment_size: 80
    .language:       OpenCL C
    .language_version:
      - 2
      - 0
    .max_flat_workgroup_size: 128
    .name:           _ZN9rocsparseL22gebsrmvn_mxn_16_kernelILj128ELj16ELj8EfEEvi20rocsparse_direction_NS_24const_host_device_scalarIT2_EEPKiS6_PKS3_iiS8_S4_PS3_21rocsparse_index_base_b
    .private_segment_fixed_size: 0
    .sgpr_count:     22
    .sgpr_spill_count: 0
    .symbol:         _ZN9rocsparseL22gebsrmvn_mxn_16_kernelILj128ELj16ELj8EfEEvi20rocsparse_direction_NS_24const_host_device_scalarIT2_EEPKiS6_PKS3_iiS8_S4_PS3_21rocsparse_index_base_b.kd
    .uniform_work_group_size: 1
    .uses_dynamic_stack: false
    .vgpr_count:     8
    .vgpr_spill_count: 0
    .wavefront_size: 32
  - .args:
      - .offset:         0
        .size:           4
        .value_kind:     by_value
      - .offset:         4
        .size:           4
        .value_kind:     by_value
      - .offset:         8
        .size:           8
        .value_kind:     by_value
      - .actual_access:  read_only
        .address_space:  global
        .offset:         16
        .size:           8
        .value_kind:     global_buffer
      - .actual_access:  read_only
        .address_space:  global
        .offset:         24
        .size:           8
        .value_kind:     global_buffer
      - .actual_access:  read_only
        .address_space:  global
        .offset:         32
        .size:           8
        .value_kind:     global_buffer
      - .offset:         40
        .size:           4
        .value_kind:     by_value
      - .offset:         44
        .size:           4
        .value_kind:     by_value
      - .actual_access:  read_only
        .address_space:  global
        .offset:         48
        .size:           8
        .value_kind:     global_buffer
      - .offset:         56
        .size:           8
        .value_kind:     by_value
      - .address_space:  global
        .offset:         64
        .size:           8
        .value_kind:     global_buffer
      - .offset:         72
        .size:           4
        .value_kind:     by_value
      - .offset:         76
        .size:           1
        .value_kind:     by_value
    .group_segment_fixed_size: 416
    .kernarg_segment_align: 8
    .kernarg_segment_size: 80
    .language:       OpenCL C
    .language_version:
      - 2
      - 0
    .max_flat_workgroup_size: 52
    .name:           _ZN9rocsparseL22gebsrmvn_mxn_16_kernelILj52ELj13ELj1EdEEvi20rocsparse_direction_NS_24const_host_device_scalarIT2_EEPKiS6_PKS3_iiS8_S4_PS3_21rocsparse_index_base_b
    .private_segment_fixed_size: 0
    .sgpr_count:     18
    .sgpr_spill_count: 0
    .symbol:         _ZN9rocsparseL22gebsrmvn_mxn_16_kernelILj52ELj13ELj1EdEEvi20rocsparse_direction_NS_24const_host_device_scalarIT2_EEPKiS6_PKS3_iiS8_S4_PS3_21rocsparse_index_base_b.kd
    .uniform_work_group_size: 1
    .uses_dynamic_stack: false
    .vgpr_count:     14
    .vgpr_spill_count: 0
    .wavefront_size: 32
  - .args:
      - .offset:         0
        .size:           4
        .value_kind:     by_value
      - .offset:         4
        .size:           4
        .value_kind:     by_value
      - .offset:         8
        .size:           8
        .value_kind:     by_value
      - .actual_access:  read_only
        .address_space:  global
        .offset:         16
        .size:           8
        .value_kind:     global_buffer
      - .actual_access:  read_only
        .address_space:  global
        .offset:         24
        .size:           8
        .value_kind:     global_buffer
      - .actual_access:  read_only
        .address_space:  global
        .offset:         32
        .size:           8
        .value_kind:     global_buffer
      - .offset:         40
        .size:           4
        .value_kind:     by_value
      - .offset:         44
        .size:           4
        .value_kind:     by_value
      - .actual_access:  read_only
        .address_space:  global
        .offset:         48
        .size:           8
        .value_kind:     global_buffer
      - .offset:         56
        .size:           8
        .value_kind:     by_value
      - .address_space:  global
        .offset:         64
        .size:           8
        .value_kind:     global_buffer
      - .offset:         72
        .size:           4
        .value_kind:     by_value
      - .offset:         76
        .size:           1
        .value_kind:     by_value
    .group_segment_fixed_size: 416
    .kernarg_segment_align: 8
    .kernarg_segment_size: 80
    .language:       OpenCL C
    .language_version:
      - 2
      - 0
    .max_flat_workgroup_size: 52
    .name:           _ZN9rocsparseL22gebsrmvn_mxn_16_kernelILj52ELj13ELj2EdEEvi20rocsparse_direction_NS_24const_host_device_scalarIT2_EEPKiS6_PKS3_iiS8_S4_PS3_21rocsparse_index_base_b
    .private_segment_fixed_size: 0
    .sgpr_count:     18
    .sgpr_spill_count: 0
    .symbol:         _ZN9rocsparseL22gebsrmvn_mxn_16_kernelILj52ELj13ELj2EdEEvi20rocsparse_direction_NS_24const_host_device_scalarIT2_EEPKiS6_PKS3_iiS8_S4_PS3_21rocsparse_index_base_b.kd
    .uniform_work_group_size: 1
    .uses_dynamic_stack: false
    .vgpr_count:     16
    .vgpr_spill_count: 0
    .wavefront_size: 32
  - .args:
      - .offset:         0
        .size:           4
        .value_kind:     by_value
      - .offset:         4
        .size:           4
        .value_kind:     by_value
      - .offset:         8
        .size:           8
        .value_kind:     by_value
      - .actual_access:  read_only
        .address_space:  global
        .offset:         16
        .size:           8
        .value_kind:     global_buffer
      - .actual_access:  read_only
        .address_space:  global
        .offset:         24
        .size:           8
        .value_kind:     global_buffer
      - .actual_access:  read_only
        .address_space:  global
        .offset:         32
        .size:           8
        .value_kind:     global_buffer
      - .offset:         40
        .size:           4
        .value_kind:     by_value
      - .offset:         44
        .size:           4
        .value_kind:     by_value
      - .actual_access:  read_only
        .address_space:  global
        .offset:         48
        .size:           8
        .value_kind:     global_buffer
      - .offset:         56
        .size:           8
        .value_kind:     by_value
      - .address_space:  global
        .offset:         64
        .size:           8
        .value_kind:     global_buffer
      - .offset:         72
        .size:           4
        .value_kind:     by_value
      - .offset:         76
        .size:           1
        .value_kind:     by_value
    .group_segment_fixed_size: 312
    .kernarg_segment_align: 8
    .kernarg_segment_size: 80
    .language:       OpenCL C
    .language_version:
      - 2
      - 0
    .max_flat_workgroup_size: 39
    .name:           _ZN9rocsparseL22gebsrmvn_mxn_16_kernelILj39ELj13ELj3EdEEvi20rocsparse_direction_NS_24const_host_device_scalarIT2_EEPKiS6_PKS3_iiS8_S4_PS3_21rocsparse_index_base_b
    .private_segment_fixed_size: 0
    .sgpr_count:     18
    .sgpr_spill_count: 0
    .symbol:         _ZN9rocsparseL22gebsrmvn_mxn_16_kernelILj39ELj13ELj3EdEEvi20rocsparse_direction_NS_24const_host_device_scalarIT2_EEPKiS6_PKS3_iiS8_S4_PS3_21rocsparse_index_base_b.kd
    .uniform_work_group_size: 1
    .uses_dynamic_stack: false
    .vgpr_count:     16
    .vgpr_spill_count: 0
    .wavefront_size: 32
  - .args:
      - .offset:         0
        .size:           4
        .value_kind:     by_value
      - .offset:         4
        .size:           4
        .value_kind:     by_value
      - .offset:         8
        .size:           8
        .value_kind:     by_value
      - .actual_access:  read_only
        .address_space:  global
        .offset:         16
        .size:           8
        .value_kind:     global_buffer
      - .actual_access:  read_only
        .address_space:  global
        .offset:         24
        .size:           8
        .value_kind:     global_buffer
      - .actual_access:  read_only
        .address_space:  global
        .offset:         32
        .size:           8
        .value_kind:     global_buffer
      - .offset:         40
        .size:           4
        .value_kind:     by_value
      - .offset:         44
        .size:           4
        .value_kind:     by_value
      - .actual_access:  read_only
        .address_space:  global
        .offset:         48
        .size:           8
        .value_kind:     global_buffer
      - .offset:         56
        .size:           8
        .value_kind:     by_value
      - .address_space:  global
        .offset:         64
        .size:           8
        .value_kind:     global_buffer
      - .offset:         72
        .size:           4
        .value_kind:     by_value
      - .offset:         76
        .size:           1
        .value_kind:     by_value
    .group_segment_fixed_size: 416
    .kernarg_segment_align: 8
    .kernarg_segment_size: 80
    .language:       OpenCL C
    .language_version:
      - 2
      - 0
    .max_flat_workgroup_size: 52
    .name:           _ZN9rocsparseL22gebsrmvn_mxn_16_kernelILj52ELj13ELj4EdEEvi20rocsparse_direction_NS_24const_host_device_scalarIT2_EEPKiS6_PKS3_iiS8_S4_PS3_21rocsparse_index_base_b
    .private_segment_fixed_size: 0
    .sgpr_count:     18
    .sgpr_spill_count: 0
    .symbol:         _ZN9rocsparseL22gebsrmvn_mxn_16_kernelILj52ELj13ELj4EdEEvi20rocsparse_direction_NS_24const_host_device_scalarIT2_EEPKiS6_PKS3_iiS8_S4_PS3_21rocsparse_index_base_b.kd
    .uniform_work_group_size: 1
    .uses_dynamic_stack: false
    .vgpr_count:     16
    .vgpr_spill_count: 0
    .wavefront_size: 32
  - .args:
      - .offset:         0
        .size:           4
        .value_kind:     by_value
      - .offset:         4
        .size:           4
        .value_kind:     by_value
      - .offset:         8
        .size:           8
        .value_kind:     by_value
      - .actual_access:  read_only
        .address_space:  global
        .offset:         16
        .size:           8
        .value_kind:     global_buffer
      - .actual_access:  read_only
        .address_space:  global
        .offset:         24
        .size:           8
        .value_kind:     global_buffer
      - .actual_access:  read_only
        .address_space:  global
        .offset:         32
        .size:           8
        .value_kind:     global_buffer
      - .offset:         40
        .size:           4
        .value_kind:     by_value
      - .offset:         44
        .size:           4
        .value_kind:     by_value
      - .actual_access:  read_only
        .address_space:  global
        .offset:         48
        .size:           8
        .value_kind:     global_buffer
      - .offset:         56
        .size:           8
        .value_kind:     by_value
      - .address_space:  global
        .offset:         64
        .size:           8
        .value_kind:     global_buffer
      - .offset:         72
        .size:           4
        .value_kind:     by_value
      - .offset:         76
        .size:           1
        .value_kind:     by_value
    .group_segment_fixed_size: 520
    .kernarg_segment_align: 8
    .kernarg_segment_size: 80
    .language:       OpenCL C
    .language_version:
      - 2
      - 0
    .max_flat_workgroup_size: 65
    .name:           _ZN9rocsparseL22gebsrmvn_mxn_16_kernelILj65ELj13ELj5EdEEvi20rocsparse_direction_NS_24const_host_device_scalarIT2_EEPKiS6_PKS3_iiS8_S4_PS3_21rocsparse_index_base_b
    .private_segment_fixed_size: 0
    .sgpr_count:     18
    .sgpr_spill_count: 0
    .symbol:         _ZN9rocsparseL22gebsrmvn_mxn_16_kernelILj65ELj13ELj5EdEEvi20rocsparse_direction_NS_24const_host_device_scalarIT2_EEPKiS6_PKS3_iiS8_S4_PS3_21rocsparse_index_base_b.kd
    .uniform_work_group_size: 1
    .uses_dynamic_stack: false
    .vgpr_count:     16
    .vgpr_spill_count: 0
    .wavefront_size: 32
  - .args:
      - .offset:         0
        .size:           4
        .value_kind:     by_value
      - .offset:         4
        .size:           4
        .value_kind:     by_value
      - .offset:         8
        .size:           8
        .value_kind:     by_value
      - .actual_access:  read_only
        .address_space:  global
        .offset:         16
        .size:           8
        .value_kind:     global_buffer
      - .actual_access:  read_only
        .address_space:  global
        .offset:         24
        .size:           8
        .value_kind:     global_buffer
      - .actual_access:  read_only
        .address_space:  global
        .offset:         32
        .size:           8
        .value_kind:     global_buffer
      - .offset:         40
        .size:           4
        .value_kind:     by_value
      - .offset:         44
        .size:           4
        .value_kind:     by_value
      - .actual_access:  read_only
        .address_space:  global
        .offset:         48
        .size:           8
        .value_kind:     global_buffer
      - .offset:         56
        .size:           8
        .value_kind:     by_value
      - .address_space:  global
        .offset:         64
        .size:           8
        .value_kind:     global_buffer
      - .offset:         72
        .size:           4
        .value_kind:     by_value
      - .offset:         76
        .size:           1
        .value_kind:     by_value
    .group_segment_fixed_size: 624
    .kernarg_segment_align: 8
    .kernarg_segment_size: 80
    .language:       OpenCL C
    .language_version:
      - 2
      - 0
    .max_flat_workgroup_size: 78
    .name:           _ZN9rocsparseL22gebsrmvn_mxn_16_kernelILj78ELj13ELj6EdEEvi20rocsparse_direction_NS_24const_host_device_scalarIT2_EEPKiS6_PKS3_iiS8_S4_PS3_21rocsparse_index_base_b
    .private_segment_fixed_size: 0
    .sgpr_count:     18
    .sgpr_spill_count: 0
    .symbol:         _ZN9rocsparseL22gebsrmvn_mxn_16_kernelILj78ELj13ELj6EdEEvi20rocsparse_direction_NS_24const_host_device_scalarIT2_EEPKiS6_PKS3_iiS8_S4_PS3_21rocsparse_index_base_b.kd
    .uniform_work_group_size: 1
    .uses_dynamic_stack: false
    .vgpr_count:     16
    .vgpr_spill_count: 0
    .wavefront_size: 32
  - .args:
      - .offset:         0
        .size:           4
        .value_kind:     by_value
      - .offset:         4
        .size:           4
        .value_kind:     by_value
      - .offset:         8
        .size:           8
        .value_kind:     by_value
      - .actual_access:  read_only
        .address_space:  global
        .offset:         16
        .size:           8
        .value_kind:     global_buffer
      - .actual_access:  read_only
        .address_space:  global
        .offset:         24
        .size:           8
        .value_kind:     global_buffer
      - .actual_access:  read_only
        .address_space:  global
        .offset:         32
        .size:           8
        .value_kind:     global_buffer
      - .offset:         40
        .size:           4
        .value_kind:     by_value
      - .offset:         44
        .size:           4
        .value_kind:     by_value
      - .actual_access:  read_only
        .address_space:  global
        .offset:         48
        .size:           8
        .value_kind:     global_buffer
      - .offset:         56
        .size:           8
        .value_kind:     by_value
      - .address_space:  global
        .offset:         64
        .size:           8
        .value_kind:     global_buffer
      - .offset:         72
        .size:           4
        .value_kind:     by_value
      - .offset:         76
        .size:           1
        .value_kind:     by_value
    .group_segment_fixed_size: 728
    .kernarg_segment_align: 8
    .kernarg_segment_size: 80
    .language:       OpenCL C
    .language_version:
      - 2
      - 0
    .max_flat_workgroup_size: 91
    .name:           _ZN9rocsparseL22gebsrmvn_mxn_16_kernelILj91ELj13ELj7EdEEvi20rocsparse_direction_NS_24const_host_device_scalarIT2_EEPKiS6_PKS3_iiS8_S4_PS3_21rocsparse_index_base_b
    .private_segment_fixed_size: 0
    .sgpr_count:     18
    .sgpr_spill_count: 0
    .symbol:         _ZN9rocsparseL22gebsrmvn_mxn_16_kernelILj91ELj13ELj7EdEEvi20rocsparse_direction_NS_24const_host_device_scalarIT2_EEPKiS6_PKS3_iiS8_S4_PS3_21rocsparse_index_base_b.kd
    .uniform_work_group_size: 1
    .uses_dynamic_stack: false
    .vgpr_count:     16
    .vgpr_spill_count: 0
    .wavefront_size: 32
  - .args:
      - .offset:         0
        .size:           4
        .value_kind:     by_value
      - .offset:         4
        .size:           4
        .value_kind:     by_value
      - .offset:         8
        .size:           8
        .value_kind:     by_value
      - .actual_access:  read_only
        .address_space:  global
        .offset:         16
        .size:           8
        .value_kind:     global_buffer
      - .actual_access:  read_only
        .address_space:  global
        .offset:         24
        .size:           8
        .value_kind:     global_buffer
      - .actual_access:  read_only
        .address_space:  global
        .offset:         32
        .size:           8
        .value_kind:     global_buffer
      - .offset:         40
        .size:           4
        .value_kind:     by_value
      - .offset:         44
        .size:           4
        .value_kind:     by_value
      - .actual_access:  read_only
        .address_space:  global
        .offset:         48
        .size:           8
        .value_kind:     global_buffer
      - .offset:         56
        .size:           8
        .value_kind:     by_value
      - .address_space:  global
        .offset:         64
        .size:           8
        .value_kind:     global_buffer
      - .offset:         72
        .size:           4
        .value_kind:     by_value
      - .offset:         76
        .size:           1
        .value_kind:     by_value
    .group_segment_fixed_size: 832
    .kernarg_segment_align: 8
    .kernarg_segment_size: 80
    .language:       OpenCL C
    .language_version:
      - 2
      - 0
    .max_flat_workgroup_size: 104
    .name:           _ZN9rocsparseL22gebsrmvn_mxn_16_kernelILj104ELj13ELj8EdEEvi20rocsparse_direction_NS_24const_host_device_scalarIT2_EEPKiS6_PKS3_iiS8_S4_PS3_21rocsparse_index_base_b
    .private_segment_fixed_size: 0
    .sgpr_count:     18
    .sgpr_spill_count: 0
    .symbol:         _ZN9rocsparseL22gebsrmvn_mxn_16_kernelILj104ELj13ELj8EdEEvi20rocsparse_direction_NS_24const_host_device_scalarIT2_EEPKiS6_PKS3_iiS8_S4_PS3_21rocsparse_index_base_b.kd
    .uniform_work_group_size: 1
    .uses_dynamic_stack: false
    .vgpr_count:     16
    .vgpr_spill_count: 0
    .wavefront_size: 32
  - .args:
      - .offset:         0
        .size:           4
        .value_kind:     by_value
      - .offset:         4
        .size:           4
        .value_kind:     by_value
      - .offset:         8
        .size:           8
        .value_kind:     by_value
      - .actual_access:  read_only
        .address_space:  global
        .offset:         16
        .size:           8
        .value_kind:     global_buffer
      - .actual_access:  read_only
        .address_space:  global
        .offset:         24
        .size:           8
        .value_kind:     global_buffer
      - .actual_access:  read_only
        .address_space:  global
        .offset:         32
        .size:           8
        .value_kind:     global_buffer
      - .offset:         40
        .size:           4
        .value_kind:     by_value
      - .offset:         44
        .size:           4
        .value_kind:     by_value
      - .actual_access:  read_only
        .address_space:  global
        .offset:         48
        .size:           8
        .value_kind:     global_buffer
      - .offset:         56
        .size:           8
        .value_kind:     by_value
      - .address_space:  global
        .offset:         64
        .size:           8
        .value_kind:     global_buffer
      - .offset:         72
        .size:           4
        .value_kind:     by_value
      - .offset:         76
        .size:           1
        .value_kind:     by_value
    .group_segment_fixed_size: 0
    .kernarg_segment_align: 8
    .kernarg_segment_size: 80
    .language:       OpenCL C
    .language_version:
      - 2
      - 0
    .max_flat_workgroup_size: 256
    .name:           _ZN9rocsparseL23gebsrmvn_general_kernelILj256ELj16EdEEvi20rocsparse_direction_NS_24const_host_device_scalarIT1_EEPKiS6_PKS3_iiS8_S4_PS3_21rocsparse_index_base_b
    .private_segment_fixed_size: 0
    .sgpr_count:     30
    .sgpr_spill_count: 0
    .symbol:         _ZN9rocsparseL23gebsrmvn_general_kernelILj256ELj16EdEEvi20rocsparse_direction_NS_24const_host_device_scalarIT1_EEPKiS6_PKS3_iiS8_S4_PS3_21rocsparse_index_base_b.kd
    .uniform_work_group_size: 1
    .uses_dynamic_stack: false
    .vgpr_count:     21
    .vgpr_spill_count: 0
    .wavefront_size: 32
  - .args:
      - .offset:         0
        .size:           4
        .value_kind:     by_value
      - .offset:         4
        .size:           4
        .value_kind:     by_value
      - .offset:         8
        .size:           8
        .value_kind:     by_value
      - .actual_access:  read_only
        .address_space:  global
        .offset:         16
        .size:           8
        .value_kind:     global_buffer
      - .actual_access:  read_only
        .address_space:  global
        .offset:         24
        .size:           8
        .value_kind:     global_buffer
      - .actual_access:  read_only
        .address_space:  global
        .offset:         32
        .size:           8
        .value_kind:     global_buffer
      - .offset:         40
        .size:           4
        .value_kind:     by_value
      - .offset:         44
        .size:           4
        .value_kind:     by_value
      - .actual_access:  read_only
        .address_space:  global
        .offset:         48
        .size:           8
        .value_kind:     global_buffer
      - .offset:         56
        .size:           8
        .value_kind:     by_value
      - .address_space:  global
        .offset:         64
        .size:           8
        .value_kind:     global_buffer
      - .offset:         72
        .size:           4
        .value_kind:     by_value
      - .offset:         76
        .size:           1
        .value_kind:     by_value
    .group_segment_fixed_size: 0
    .kernarg_segment_align: 8
    .kernarg_segment_size: 80
    .language:       OpenCL C
    .language_version:
      - 2
      - 0
    .max_flat_workgroup_size: 512
    .name:           _ZN9rocsparseL23gebsrmvn_general_kernelILj512ELj32EdEEvi20rocsparse_direction_NS_24const_host_device_scalarIT1_EEPKiS6_PKS3_iiS8_S4_PS3_21rocsparse_index_base_b
    .private_segment_fixed_size: 0
    .sgpr_count:     30
    .sgpr_spill_count: 0
    .symbol:         _ZN9rocsparseL23gebsrmvn_general_kernelILj512ELj32EdEEvi20rocsparse_direction_NS_24const_host_device_scalarIT1_EEPKiS6_PKS3_iiS8_S4_PS3_21rocsparse_index_base_b.kd
    .uniform_work_group_size: 1
    .uses_dynamic_stack: false
    .vgpr_count:     22
    .vgpr_spill_count: 0
    .wavefront_size: 32
  - .args:
      - .offset:         0
        .size:           4
        .value_kind:     by_value
      - .offset:         4
        .size:           4
        .value_kind:     by_value
      - .offset:         8
        .size:           8
        .value_kind:     by_value
      - .actual_access:  read_only
        .address_space:  global
        .offset:         16
        .size:           8
        .value_kind:     global_buffer
      - .actual_access:  read_only
        .address_space:  global
        .offset:         24
        .size:           8
        .value_kind:     global_buffer
      - .actual_access:  read_only
        .address_space:  global
        .offset:         32
        .size:           8
        .value_kind:     global_buffer
      - .offset:         40
        .size:           4
        .value_kind:     by_value
      - .offset:         44
        .size:           4
        .value_kind:     by_value
      - .actual_access:  read_only
        .address_space:  global
        .offset:         48
        .size:           8
        .value_kind:     global_buffer
      - .offset:         56
        .size:           8
        .value_kind:     by_value
      - .address_space:  global
        .offset:         64
        .size:           8
        .value_kind:     global_buffer
      - .offset:         72
        .size:           4
        .value_kind:     by_value
      - .offset:         76
        .size:           1
        .value_kind:     by_value
    .group_segment_fixed_size: 448
    .kernarg_segment_align: 8
    .kernarg_segment_size: 80
    .language:       OpenCL C
    .language_version:
      - 2
      - 0
    .max_flat_workgroup_size: 56
    .name:           _ZN9rocsparseL22gebsrmvn_mxn_16_kernelILj56ELj14ELj1EdEEvi20rocsparse_direction_NS_24const_host_device_scalarIT2_EEPKiS6_PKS3_iiS8_S4_PS3_21rocsparse_index_base_b
    .private_segment_fixed_size: 0
    .sgpr_count:     18
    .sgpr_spill_count: 0
    .symbol:         _ZN9rocsparseL22gebsrmvn_mxn_16_kernelILj56ELj14ELj1EdEEvi20rocsparse_direction_NS_24const_host_device_scalarIT2_EEPKiS6_PKS3_iiS8_S4_PS3_21rocsparse_index_base_b.kd
    .uniform_work_group_size: 1
    .uses_dynamic_stack: false
    .vgpr_count:     14
    .vgpr_spill_count: 0
    .wavefront_size: 32
  - .args:
      - .offset:         0
        .size:           4
        .value_kind:     by_value
      - .offset:         4
        .size:           4
        .value_kind:     by_value
      - .offset:         8
        .size:           8
        .value_kind:     by_value
      - .actual_access:  read_only
        .address_space:  global
        .offset:         16
        .size:           8
        .value_kind:     global_buffer
      - .actual_access:  read_only
        .address_space:  global
        .offset:         24
        .size:           8
        .value_kind:     global_buffer
      - .actual_access:  read_only
        .address_space:  global
        .offset:         32
        .size:           8
        .value_kind:     global_buffer
      - .offset:         40
        .size:           4
        .value_kind:     by_value
      - .offset:         44
        .size:           4
        .value_kind:     by_value
      - .actual_access:  read_only
        .address_space:  global
        .offset:         48
        .size:           8
        .value_kind:     global_buffer
      - .offset:         56
        .size:           8
        .value_kind:     by_value
      - .address_space:  global
        .offset:         64
        .size:           8
        .value_kind:     global_buffer
      - .offset:         72
        .size:           4
        .value_kind:     by_value
      - .offset:         76
        .size:           1
        .value_kind:     by_value
    .group_segment_fixed_size: 448
    .kernarg_segment_align: 8
    .kernarg_segment_size: 80
    .language:       OpenCL C
    .language_version:
      - 2
      - 0
    .max_flat_workgroup_size: 56
    .name:           _ZN9rocsparseL22gebsrmvn_mxn_16_kernelILj56ELj14ELj2EdEEvi20rocsparse_direction_NS_24const_host_device_scalarIT2_EEPKiS6_PKS3_iiS8_S4_PS3_21rocsparse_index_base_b
    .private_segment_fixed_size: 0
    .sgpr_count:     18
    .sgpr_spill_count: 0
    .symbol:         _ZN9rocsparseL22gebsrmvn_mxn_16_kernelILj56ELj14ELj2EdEEvi20rocsparse_direction_NS_24const_host_device_scalarIT2_EEPKiS6_PKS3_iiS8_S4_PS3_21rocsparse_index_base_b.kd
    .uniform_work_group_size: 1
    .uses_dynamic_stack: false
    .vgpr_count:     16
    .vgpr_spill_count: 0
    .wavefront_size: 32
  - .args:
      - .offset:         0
        .size:           4
        .value_kind:     by_value
      - .offset:         4
        .size:           4
        .value_kind:     by_value
      - .offset:         8
        .size:           8
        .value_kind:     by_value
      - .actual_access:  read_only
        .address_space:  global
        .offset:         16
        .size:           8
        .value_kind:     global_buffer
      - .actual_access:  read_only
        .address_space:  global
        .offset:         24
        .size:           8
        .value_kind:     global_buffer
      - .actual_access:  read_only
        .address_space:  global
        .offset:         32
        .size:           8
        .value_kind:     global_buffer
      - .offset:         40
        .size:           4
        .value_kind:     by_value
      - .offset:         44
        .size:           4
        .value_kind:     by_value
      - .actual_access:  read_only
        .address_space:  global
        .offset:         48
        .size:           8
        .value_kind:     global_buffer
      - .offset:         56
        .size:           8
        .value_kind:     by_value
      - .address_space:  global
        .offset:         64
        .size:           8
        .value_kind:     global_buffer
      - .offset:         72
        .size:           4
        .value_kind:     by_value
      - .offset:         76
        .size:           1
        .value_kind:     by_value
    .group_segment_fixed_size: 336
    .kernarg_segment_align: 8
    .kernarg_segment_size: 80
    .language:       OpenCL C
    .language_version:
      - 2
      - 0
    .max_flat_workgroup_size: 42
    .name:           _ZN9rocsparseL22gebsrmvn_mxn_16_kernelILj42ELj14ELj3EdEEvi20rocsparse_direction_NS_24const_host_device_scalarIT2_EEPKiS6_PKS3_iiS8_S4_PS3_21rocsparse_index_base_b
    .private_segment_fixed_size: 0
    .sgpr_count:     18
    .sgpr_spill_count: 0
    .symbol:         _ZN9rocsparseL22gebsrmvn_mxn_16_kernelILj42ELj14ELj3EdEEvi20rocsparse_direction_NS_24const_host_device_scalarIT2_EEPKiS6_PKS3_iiS8_S4_PS3_21rocsparse_index_base_b.kd
    .uniform_work_group_size: 1
    .uses_dynamic_stack: false
    .vgpr_count:     16
    .vgpr_spill_count: 0
    .wavefront_size: 32
  - .args:
      - .offset:         0
        .size:           4
        .value_kind:     by_value
      - .offset:         4
        .size:           4
        .value_kind:     by_value
      - .offset:         8
        .size:           8
        .value_kind:     by_value
      - .actual_access:  read_only
        .address_space:  global
        .offset:         16
        .size:           8
        .value_kind:     global_buffer
      - .actual_access:  read_only
        .address_space:  global
        .offset:         24
        .size:           8
        .value_kind:     global_buffer
      - .actual_access:  read_only
        .address_space:  global
        .offset:         32
        .size:           8
        .value_kind:     global_buffer
      - .offset:         40
        .size:           4
        .value_kind:     by_value
      - .offset:         44
        .size:           4
        .value_kind:     by_value
      - .actual_access:  read_only
        .address_space:  global
        .offset:         48
        .size:           8
        .value_kind:     global_buffer
      - .offset:         56
        .size:           8
        .value_kind:     by_value
      - .address_space:  global
        .offset:         64
        .size:           8
        .value_kind:     global_buffer
      - .offset:         72
        .size:           4
        .value_kind:     by_value
      - .offset:         76
        .size:           1
        .value_kind:     by_value
    .group_segment_fixed_size: 448
    .kernarg_segment_align: 8
    .kernarg_segment_size: 80
    .language:       OpenCL C
    .language_version:
      - 2
      - 0
    .max_flat_workgroup_size: 56
    .name:           _ZN9rocsparseL22gebsrmvn_mxn_16_kernelILj56ELj14ELj4EdEEvi20rocsparse_direction_NS_24const_host_device_scalarIT2_EEPKiS6_PKS3_iiS8_S4_PS3_21rocsparse_index_base_b
    .private_segment_fixed_size: 0
    .sgpr_count:     18
    .sgpr_spill_count: 0
    .symbol:         _ZN9rocsparseL22gebsrmvn_mxn_16_kernelILj56ELj14ELj4EdEEvi20rocsparse_direction_NS_24const_host_device_scalarIT2_EEPKiS6_PKS3_iiS8_S4_PS3_21rocsparse_index_base_b.kd
    .uniform_work_group_size: 1
    .uses_dynamic_stack: false
    .vgpr_count:     16
    .vgpr_spill_count: 0
    .wavefront_size: 32
  - .args:
      - .offset:         0
        .size:           4
        .value_kind:     by_value
      - .offset:         4
        .size:           4
        .value_kind:     by_value
      - .offset:         8
        .size:           8
        .value_kind:     by_value
      - .actual_access:  read_only
        .address_space:  global
        .offset:         16
        .size:           8
        .value_kind:     global_buffer
      - .actual_access:  read_only
        .address_space:  global
        .offset:         24
        .size:           8
        .value_kind:     global_buffer
      - .actual_access:  read_only
        .address_space:  global
        .offset:         32
        .size:           8
        .value_kind:     global_buffer
      - .offset:         40
        .size:           4
        .value_kind:     by_value
      - .offset:         44
        .size:           4
        .value_kind:     by_value
      - .actual_access:  read_only
        .address_space:  global
        .offset:         48
        .size:           8
        .value_kind:     global_buffer
      - .offset:         56
        .size:           8
        .value_kind:     by_value
      - .address_space:  global
        .offset:         64
        .size:           8
        .value_kind:     global_buffer
      - .offset:         72
        .size:           4
        .value_kind:     by_value
      - .offset:         76
        .size:           1
        .value_kind:     by_value
    .group_segment_fixed_size: 560
    .kernarg_segment_align: 8
    .kernarg_segment_size: 80
    .language:       OpenCL C
    .language_version:
      - 2
      - 0
    .max_flat_workgroup_size: 70
    .name:           _ZN9rocsparseL22gebsrmvn_mxn_16_kernelILj70ELj14ELj5EdEEvi20rocsparse_direction_NS_24const_host_device_scalarIT2_EEPKiS6_PKS3_iiS8_S4_PS3_21rocsparse_index_base_b
    .private_segment_fixed_size: 0
    .sgpr_count:     18
    .sgpr_spill_count: 0
    .symbol:         _ZN9rocsparseL22gebsrmvn_mxn_16_kernelILj70ELj14ELj5EdEEvi20rocsparse_direction_NS_24const_host_device_scalarIT2_EEPKiS6_PKS3_iiS8_S4_PS3_21rocsparse_index_base_b.kd
    .uniform_work_group_size: 1
    .uses_dynamic_stack: false
    .vgpr_count:     16
    .vgpr_spill_count: 0
    .wavefront_size: 32
  - .args:
      - .offset:         0
        .size:           4
        .value_kind:     by_value
      - .offset:         4
        .size:           4
        .value_kind:     by_value
      - .offset:         8
        .size:           8
        .value_kind:     by_value
      - .actual_access:  read_only
        .address_space:  global
        .offset:         16
        .size:           8
        .value_kind:     global_buffer
      - .actual_access:  read_only
        .address_space:  global
        .offset:         24
        .size:           8
        .value_kind:     global_buffer
      - .actual_access:  read_only
        .address_space:  global
        .offset:         32
        .size:           8
        .value_kind:     global_buffer
      - .offset:         40
        .size:           4
        .value_kind:     by_value
      - .offset:         44
        .size:           4
        .value_kind:     by_value
      - .actual_access:  read_only
        .address_space:  global
        .offset:         48
        .size:           8
        .value_kind:     global_buffer
      - .offset:         56
        .size:           8
        .value_kind:     by_value
      - .address_space:  global
        .offset:         64
        .size:           8
        .value_kind:     global_buffer
      - .offset:         72
        .size:           4
        .value_kind:     by_value
      - .offset:         76
        .size:           1
        .value_kind:     by_value
    .group_segment_fixed_size: 672
    .kernarg_segment_align: 8
    .kernarg_segment_size: 80
    .language:       OpenCL C
    .language_version:
      - 2
      - 0
    .max_flat_workgroup_size: 84
    .name:           _ZN9rocsparseL22gebsrmvn_mxn_16_kernelILj84ELj14ELj6EdEEvi20rocsparse_direction_NS_24const_host_device_scalarIT2_EEPKiS6_PKS3_iiS8_S4_PS3_21rocsparse_index_base_b
    .private_segment_fixed_size: 0
    .sgpr_count:     18
    .sgpr_spill_count: 0
    .symbol:         _ZN9rocsparseL22gebsrmvn_mxn_16_kernelILj84ELj14ELj6EdEEvi20rocsparse_direction_NS_24const_host_device_scalarIT2_EEPKiS6_PKS3_iiS8_S4_PS3_21rocsparse_index_base_b.kd
    .uniform_work_group_size: 1
    .uses_dynamic_stack: false
    .vgpr_count:     16
    .vgpr_spill_count: 0
    .wavefront_size: 32
  - .args:
      - .offset:         0
        .size:           4
        .value_kind:     by_value
      - .offset:         4
        .size:           4
        .value_kind:     by_value
      - .offset:         8
        .size:           8
        .value_kind:     by_value
      - .actual_access:  read_only
        .address_space:  global
        .offset:         16
        .size:           8
        .value_kind:     global_buffer
      - .actual_access:  read_only
        .address_space:  global
        .offset:         24
        .size:           8
        .value_kind:     global_buffer
      - .actual_access:  read_only
        .address_space:  global
        .offset:         32
        .size:           8
        .value_kind:     global_buffer
      - .offset:         40
        .size:           4
        .value_kind:     by_value
      - .offset:         44
        .size:           4
        .value_kind:     by_value
      - .actual_access:  read_only
        .address_space:  global
        .offset:         48
        .size:           8
        .value_kind:     global_buffer
      - .offset:         56
        .size:           8
        .value_kind:     by_value
      - .address_space:  global
        .offset:         64
        .size:           8
        .value_kind:     global_buffer
      - .offset:         72
        .size:           4
        .value_kind:     by_value
      - .offset:         76
        .size:           1
        .value_kind:     by_value
    .group_segment_fixed_size: 784
    .kernarg_segment_align: 8
    .kernarg_segment_size: 80
    .language:       OpenCL C
    .language_version:
      - 2
      - 0
    .max_flat_workgroup_size: 98
    .name:           _ZN9rocsparseL22gebsrmvn_mxn_16_kernelILj98ELj14ELj7EdEEvi20rocsparse_direction_NS_24const_host_device_scalarIT2_EEPKiS6_PKS3_iiS8_S4_PS3_21rocsparse_index_base_b
    .private_segment_fixed_size: 0
    .sgpr_count:     18
    .sgpr_spill_count: 0
    .symbol:         _ZN9rocsparseL22gebsrmvn_mxn_16_kernelILj98ELj14ELj7EdEEvi20rocsparse_direction_NS_24const_host_device_scalarIT2_EEPKiS6_PKS3_iiS8_S4_PS3_21rocsparse_index_base_b.kd
    .uniform_work_group_size: 1
    .uses_dynamic_stack: false
    .vgpr_count:     16
    .vgpr_spill_count: 0
    .wavefront_size: 32
  - .args:
      - .offset:         0
        .size:           4
        .value_kind:     by_value
      - .offset:         4
        .size:           4
        .value_kind:     by_value
      - .offset:         8
        .size:           8
        .value_kind:     by_value
      - .actual_access:  read_only
        .address_space:  global
        .offset:         16
        .size:           8
        .value_kind:     global_buffer
      - .actual_access:  read_only
        .address_space:  global
        .offset:         24
        .size:           8
        .value_kind:     global_buffer
      - .actual_access:  read_only
        .address_space:  global
        .offset:         32
        .size:           8
        .value_kind:     global_buffer
      - .offset:         40
        .size:           4
        .value_kind:     by_value
      - .offset:         44
        .size:           4
        .value_kind:     by_value
      - .actual_access:  read_only
        .address_space:  global
        .offset:         48
        .size:           8
        .value_kind:     global_buffer
      - .offset:         56
        .size:           8
        .value_kind:     by_value
      - .address_space:  global
        .offset:         64
        .size:           8
        .value_kind:     global_buffer
      - .offset:         72
        .size:           4
        .value_kind:     by_value
      - .offset:         76
        .size:           1
        .value_kind:     by_value
    .group_segment_fixed_size: 896
    .kernarg_segment_align: 8
    .kernarg_segment_size: 80
    .language:       OpenCL C
    .language_version:
      - 2
      - 0
    .max_flat_workgroup_size: 112
    .name:           _ZN9rocsparseL22gebsrmvn_mxn_16_kernelILj112ELj14ELj8EdEEvi20rocsparse_direction_NS_24const_host_device_scalarIT2_EEPKiS6_PKS3_iiS8_S4_PS3_21rocsparse_index_base_b
    .private_segment_fixed_size: 0
    .sgpr_count:     18
    .sgpr_spill_count: 0
    .symbol:         _ZN9rocsparseL22gebsrmvn_mxn_16_kernelILj112ELj14ELj8EdEEvi20rocsparse_direction_NS_24const_host_device_scalarIT2_EEPKiS6_PKS3_iiS8_S4_PS3_21rocsparse_index_base_b.kd
    .uniform_work_group_size: 1
    .uses_dynamic_stack: false
    .vgpr_count:     16
    .vgpr_spill_count: 0
    .wavefront_size: 32
  - .args:
      - .offset:         0
        .size:           4
        .value_kind:     by_value
      - .offset:         4
        .size:           4
        .value_kind:     by_value
      - .offset:         8
        .size:           8
        .value_kind:     by_value
      - .actual_access:  read_only
        .address_space:  global
        .offset:         16
        .size:           8
        .value_kind:     global_buffer
      - .actual_access:  read_only
        .address_space:  global
        .offset:         24
        .size:           8
        .value_kind:     global_buffer
      - .actual_access:  read_only
        .address_space:  global
        .offset:         32
        .size:           8
        .value_kind:     global_buffer
      - .offset:         40
        .size:           4
        .value_kind:     by_value
      - .offset:         44
        .size:           4
        .value_kind:     by_value
      - .actual_access:  read_only
        .address_space:  global
        .offset:         48
        .size:           8
        .value_kind:     global_buffer
      - .offset:         56
        .size:           8
        .value_kind:     by_value
      - .address_space:  global
        .offset:         64
        .size:           8
        .value_kind:     global_buffer
      - .offset:         72
        .size:           4
        .value_kind:     by_value
      - .offset:         76
        .size:           1
        .value_kind:     by_value
    .group_segment_fixed_size: 480
    .kernarg_segment_align: 8
    .kernarg_segment_size: 80
    .language:       OpenCL C
    .language_version:
      - 2
      - 0
    .max_flat_workgroup_size: 60
    .name:           _ZN9rocsparseL22gebsrmvn_mxn_16_kernelILj60ELj15ELj1EdEEvi20rocsparse_direction_NS_24const_host_device_scalarIT2_EEPKiS6_PKS3_iiS8_S4_PS3_21rocsparse_index_base_b
    .private_segment_fixed_size: 0
    .sgpr_count:     18
    .sgpr_spill_count: 0
    .symbol:         _ZN9rocsparseL22gebsrmvn_mxn_16_kernelILj60ELj15ELj1EdEEvi20rocsparse_direction_NS_24const_host_device_scalarIT2_EEPKiS6_PKS3_iiS8_S4_PS3_21rocsparse_index_base_b.kd
    .uniform_work_group_size: 1
    .uses_dynamic_stack: false
    .vgpr_count:     14
    .vgpr_spill_count: 0
    .wavefront_size: 32
  - .args:
      - .offset:         0
        .size:           4
        .value_kind:     by_value
      - .offset:         4
        .size:           4
        .value_kind:     by_value
      - .offset:         8
        .size:           8
        .value_kind:     by_value
      - .actual_access:  read_only
        .address_space:  global
        .offset:         16
        .size:           8
        .value_kind:     global_buffer
      - .actual_access:  read_only
        .address_space:  global
        .offset:         24
        .size:           8
        .value_kind:     global_buffer
      - .actual_access:  read_only
        .address_space:  global
        .offset:         32
        .size:           8
        .value_kind:     global_buffer
      - .offset:         40
        .size:           4
        .value_kind:     by_value
      - .offset:         44
        .size:           4
        .value_kind:     by_value
      - .actual_access:  read_only
        .address_space:  global
        .offset:         48
        .size:           8
        .value_kind:     global_buffer
      - .offset:         56
        .size:           8
        .value_kind:     by_value
      - .address_space:  global
        .offset:         64
        .size:           8
        .value_kind:     global_buffer
      - .offset:         72
        .size:           4
        .value_kind:     by_value
      - .offset:         76
        .size:           1
        .value_kind:     by_value
    .group_segment_fixed_size: 480
    .kernarg_segment_align: 8
    .kernarg_segment_size: 80
    .language:       OpenCL C
    .language_version:
      - 2
      - 0
    .max_flat_workgroup_size: 60
    .name:           _ZN9rocsparseL22gebsrmvn_mxn_16_kernelILj60ELj15ELj2EdEEvi20rocsparse_direction_NS_24const_host_device_scalarIT2_EEPKiS6_PKS3_iiS8_S4_PS3_21rocsparse_index_base_b
    .private_segment_fixed_size: 0
    .sgpr_count:     18
    .sgpr_spill_count: 0
    .symbol:         _ZN9rocsparseL22gebsrmvn_mxn_16_kernelILj60ELj15ELj2EdEEvi20rocsparse_direction_NS_24const_host_device_scalarIT2_EEPKiS6_PKS3_iiS8_S4_PS3_21rocsparse_index_base_b.kd
    .uniform_work_group_size: 1
    .uses_dynamic_stack: false
    .vgpr_count:     16
    .vgpr_spill_count: 0
    .wavefront_size: 32
  - .args:
      - .offset:         0
        .size:           4
        .value_kind:     by_value
      - .offset:         4
        .size:           4
        .value_kind:     by_value
      - .offset:         8
        .size:           8
        .value_kind:     by_value
      - .actual_access:  read_only
        .address_space:  global
        .offset:         16
        .size:           8
        .value_kind:     global_buffer
      - .actual_access:  read_only
        .address_space:  global
        .offset:         24
        .size:           8
        .value_kind:     global_buffer
      - .actual_access:  read_only
        .address_space:  global
        .offset:         32
        .size:           8
        .value_kind:     global_buffer
      - .offset:         40
        .size:           4
        .value_kind:     by_value
      - .offset:         44
        .size:           4
        .value_kind:     by_value
      - .actual_access:  read_only
        .address_space:  global
        .offset:         48
        .size:           8
        .value_kind:     global_buffer
      - .offset:         56
        .size:           8
        .value_kind:     by_value
      - .address_space:  global
        .offset:         64
        .size:           8
        .value_kind:     global_buffer
      - .offset:         72
        .size:           4
        .value_kind:     by_value
      - .offset:         76
        .size:           1
        .value_kind:     by_value
    .group_segment_fixed_size: 360
    .kernarg_segment_align: 8
    .kernarg_segment_size: 80
    .language:       OpenCL C
    .language_version:
      - 2
      - 0
    .max_flat_workgroup_size: 45
    .name:           _ZN9rocsparseL22gebsrmvn_mxn_16_kernelILj45ELj15ELj3EdEEvi20rocsparse_direction_NS_24const_host_device_scalarIT2_EEPKiS6_PKS3_iiS8_S4_PS3_21rocsparse_index_base_b
    .private_segment_fixed_size: 0
    .sgpr_count:     18
    .sgpr_spill_count: 0
    .symbol:         _ZN9rocsparseL22gebsrmvn_mxn_16_kernelILj45ELj15ELj3EdEEvi20rocsparse_direction_NS_24const_host_device_scalarIT2_EEPKiS6_PKS3_iiS8_S4_PS3_21rocsparse_index_base_b.kd
    .uniform_work_group_size: 1
    .uses_dynamic_stack: false
    .vgpr_count:     16
    .vgpr_spill_count: 0
    .wavefront_size: 32
  - .args:
      - .offset:         0
        .size:           4
        .value_kind:     by_value
      - .offset:         4
        .size:           4
        .value_kind:     by_value
      - .offset:         8
        .size:           8
        .value_kind:     by_value
      - .actual_access:  read_only
        .address_space:  global
        .offset:         16
        .size:           8
        .value_kind:     global_buffer
      - .actual_access:  read_only
        .address_space:  global
        .offset:         24
        .size:           8
        .value_kind:     global_buffer
      - .actual_access:  read_only
        .address_space:  global
        .offset:         32
        .size:           8
        .value_kind:     global_buffer
      - .offset:         40
        .size:           4
        .value_kind:     by_value
      - .offset:         44
        .size:           4
        .value_kind:     by_value
      - .actual_access:  read_only
        .address_space:  global
        .offset:         48
        .size:           8
        .value_kind:     global_buffer
      - .offset:         56
        .size:           8
        .value_kind:     by_value
      - .address_space:  global
        .offset:         64
        .size:           8
        .value_kind:     global_buffer
      - .offset:         72
        .size:           4
        .value_kind:     by_value
      - .offset:         76
        .size:           1
        .value_kind:     by_value
    .group_segment_fixed_size: 480
    .kernarg_segment_align: 8
    .kernarg_segment_size: 80
    .language:       OpenCL C
    .language_version:
      - 2
      - 0
    .max_flat_workgroup_size: 60
    .name:           _ZN9rocsparseL22gebsrmvn_mxn_16_kernelILj60ELj15ELj4EdEEvi20rocsparse_direction_NS_24const_host_device_scalarIT2_EEPKiS6_PKS3_iiS8_S4_PS3_21rocsparse_index_base_b
    .private_segment_fixed_size: 0
    .sgpr_count:     18
    .sgpr_spill_count: 0
    .symbol:         _ZN9rocsparseL22gebsrmvn_mxn_16_kernelILj60ELj15ELj4EdEEvi20rocsparse_direction_NS_24const_host_device_scalarIT2_EEPKiS6_PKS3_iiS8_S4_PS3_21rocsparse_index_base_b.kd
    .uniform_work_group_size: 1
    .uses_dynamic_stack: false
    .vgpr_count:     16
    .vgpr_spill_count: 0
    .wavefront_size: 32
  - .args:
      - .offset:         0
        .size:           4
        .value_kind:     by_value
      - .offset:         4
        .size:           4
        .value_kind:     by_value
      - .offset:         8
        .size:           8
        .value_kind:     by_value
      - .actual_access:  read_only
        .address_space:  global
        .offset:         16
        .size:           8
        .value_kind:     global_buffer
      - .actual_access:  read_only
        .address_space:  global
        .offset:         24
        .size:           8
        .value_kind:     global_buffer
      - .actual_access:  read_only
        .address_space:  global
        .offset:         32
        .size:           8
        .value_kind:     global_buffer
      - .offset:         40
        .size:           4
        .value_kind:     by_value
      - .offset:         44
        .size:           4
        .value_kind:     by_value
      - .actual_access:  read_only
        .address_space:  global
        .offset:         48
        .size:           8
        .value_kind:     global_buffer
      - .offset:         56
        .size:           8
        .value_kind:     by_value
      - .address_space:  global
        .offset:         64
        .size:           8
        .value_kind:     global_buffer
      - .offset:         72
        .size:           4
        .value_kind:     by_value
      - .offset:         76
        .size:           1
        .value_kind:     by_value
    .group_segment_fixed_size: 600
    .kernarg_segment_align: 8
    .kernarg_segment_size: 80
    .language:       OpenCL C
    .language_version:
      - 2
      - 0
    .max_flat_workgroup_size: 75
    .name:           _ZN9rocsparseL22gebsrmvn_mxn_16_kernelILj75ELj15ELj5EdEEvi20rocsparse_direction_NS_24const_host_device_scalarIT2_EEPKiS6_PKS3_iiS8_S4_PS3_21rocsparse_index_base_b
    .private_segment_fixed_size: 0
    .sgpr_count:     18
    .sgpr_spill_count: 0
    .symbol:         _ZN9rocsparseL22gebsrmvn_mxn_16_kernelILj75ELj15ELj5EdEEvi20rocsparse_direction_NS_24const_host_device_scalarIT2_EEPKiS6_PKS3_iiS8_S4_PS3_21rocsparse_index_base_b.kd
    .uniform_work_group_size: 1
    .uses_dynamic_stack: false
    .vgpr_count:     16
    .vgpr_spill_count: 0
    .wavefront_size: 32
  - .args:
      - .offset:         0
        .size:           4
        .value_kind:     by_value
      - .offset:         4
        .size:           4
        .value_kind:     by_value
      - .offset:         8
        .size:           8
        .value_kind:     by_value
      - .actual_access:  read_only
        .address_space:  global
        .offset:         16
        .size:           8
        .value_kind:     global_buffer
      - .actual_access:  read_only
        .address_space:  global
        .offset:         24
        .size:           8
        .value_kind:     global_buffer
      - .actual_access:  read_only
        .address_space:  global
        .offset:         32
        .size:           8
        .value_kind:     global_buffer
      - .offset:         40
        .size:           4
        .value_kind:     by_value
      - .offset:         44
        .size:           4
        .value_kind:     by_value
      - .actual_access:  read_only
        .address_space:  global
        .offset:         48
        .size:           8
        .value_kind:     global_buffer
      - .offset:         56
        .size:           8
        .value_kind:     by_value
      - .address_space:  global
        .offset:         64
        .size:           8
        .value_kind:     global_buffer
      - .offset:         72
        .size:           4
        .value_kind:     by_value
      - .offset:         76
        .size:           1
        .value_kind:     by_value
    .group_segment_fixed_size: 720
    .kernarg_segment_align: 8
    .kernarg_segment_size: 80
    .language:       OpenCL C
    .language_version:
      - 2
      - 0
    .max_flat_workgroup_size: 90
    .name:           _ZN9rocsparseL22gebsrmvn_mxn_16_kernelILj90ELj15ELj6EdEEvi20rocsparse_direction_NS_24const_host_device_scalarIT2_EEPKiS6_PKS3_iiS8_S4_PS3_21rocsparse_index_base_b
    .private_segment_fixed_size: 0
    .sgpr_count:     18
    .sgpr_spill_count: 0
    .symbol:         _ZN9rocsparseL22gebsrmvn_mxn_16_kernelILj90ELj15ELj6EdEEvi20rocsparse_direction_NS_24const_host_device_scalarIT2_EEPKiS6_PKS3_iiS8_S4_PS3_21rocsparse_index_base_b.kd
    .uniform_work_group_size: 1
    .uses_dynamic_stack: false
    .vgpr_count:     16
    .vgpr_spill_count: 0
    .wavefront_size: 32
  - .args:
      - .offset:         0
        .size:           4
        .value_kind:     by_value
      - .offset:         4
        .size:           4
        .value_kind:     by_value
      - .offset:         8
        .size:           8
        .value_kind:     by_value
      - .actual_access:  read_only
        .address_space:  global
        .offset:         16
        .size:           8
        .value_kind:     global_buffer
      - .actual_access:  read_only
        .address_space:  global
        .offset:         24
        .size:           8
        .value_kind:     global_buffer
      - .actual_access:  read_only
        .address_space:  global
        .offset:         32
        .size:           8
        .value_kind:     global_buffer
      - .offset:         40
        .size:           4
        .value_kind:     by_value
      - .offset:         44
        .size:           4
        .value_kind:     by_value
      - .actual_access:  read_only
        .address_space:  global
        .offset:         48
        .size:           8
        .value_kind:     global_buffer
      - .offset:         56
        .size:           8
        .value_kind:     by_value
      - .address_space:  global
        .offset:         64
        .size:           8
        .value_kind:     global_buffer
      - .offset:         72
        .size:           4
        .value_kind:     by_value
      - .offset:         76
        .size:           1
        .value_kind:     by_value
    .group_segment_fixed_size: 840
    .kernarg_segment_align: 8
    .kernarg_segment_size: 80
    .language:       OpenCL C
    .language_version:
      - 2
      - 0
    .max_flat_workgroup_size: 105
    .name:           _ZN9rocsparseL22gebsrmvn_mxn_16_kernelILj105ELj15ELj7EdEEvi20rocsparse_direction_NS_24const_host_device_scalarIT2_EEPKiS6_PKS3_iiS8_S4_PS3_21rocsparse_index_base_b
    .private_segment_fixed_size: 0
    .sgpr_count:     18
    .sgpr_spill_count: 0
    .symbol:         _ZN9rocsparseL22gebsrmvn_mxn_16_kernelILj105ELj15ELj7EdEEvi20rocsparse_direction_NS_24const_host_device_scalarIT2_EEPKiS6_PKS3_iiS8_S4_PS3_21rocsparse_index_base_b.kd
    .uniform_work_group_size: 1
    .uses_dynamic_stack: false
    .vgpr_count:     16
    .vgpr_spill_count: 0
    .wavefront_size: 32
  - .args:
      - .offset:         0
        .size:           4
        .value_kind:     by_value
      - .offset:         4
        .size:           4
        .value_kind:     by_value
      - .offset:         8
        .size:           8
        .value_kind:     by_value
      - .actual_access:  read_only
        .address_space:  global
        .offset:         16
        .size:           8
        .value_kind:     global_buffer
      - .actual_access:  read_only
        .address_space:  global
        .offset:         24
        .size:           8
        .value_kind:     global_buffer
      - .actual_access:  read_only
        .address_space:  global
        .offset:         32
        .size:           8
        .value_kind:     global_buffer
      - .offset:         40
        .size:           4
        .value_kind:     by_value
      - .offset:         44
        .size:           4
        .value_kind:     by_value
      - .actual_access:  read_only
        .address_space:  global
        .offset:         48
        .size:           8
        .value_kind:     global_buffer
      - .offset:         56
        .size:           8
        .value_kind:     by_value
      - .address_space:  global
        .offset:         64
        .size:           8
        .value_kind:     global_buffer
      - .offset:         72
        .size:           4
        .value_kind:     by_value
      - .offset:         76
        .size:           1
        .value_kind:     by_value
    .group_segment_fixed_size: 960
    .kernarg_segment_align: 8
    .kernarg_segment_size: 80
    .language:       OpenCL C
    .language_version:
      - 2
      - 0
    .max_flat_workgroup_size: 120
    .name:           _ZN9rocsparseL22gebsrmvn_mxn_16_kernelILj120ELj15ELj8EdEEvi20rocsparse_direction_NS_24const_host_device_scalarIT2_EEPKiS6_PKS3_iiS8_S4_PS3_21rocsparse_index_base_b
    .private_segment_fixed_size: 0
    .sgpr_count:     18
    .sgpr_spill_count: 0
    .symbol:         _ZN9rocsparseL22gebsrmvn_mxn_16_kernelILj120ELj15ELj8EdEEvi20rocsparse_direction_NS_24const_host_device_scalarIT2_EEPKiS6_PKS3_iiS8_S4_PS3_21rocsparse_index_base_b.kd
    .uniform_work_group_size: 1
    .uses_dynamic_stack: false
    .vgpr_count:     16
    .vgpr_spill_count: 0
    .wavefront_size: 32
  - .args:
      - .offset:         0
        .size:           4
        .value_kind:     by_value
      - .offset:         4
        .size:           4
        .value_kind:     by_value
      - .offset:         8
        .size:           8
        .value_kind:     by_value
      - .actual_access:  read_only
        .address_space:  global
        .offset:         16
        .size:           8
        .value_kind:     global_buffer
      - .actual_access:  read_only
        .address_space:  global
        .offset:         24
        .size:           8
        .value_kind:     global_buffer
      - .actual_access:  read_only
        .address_space:  global
        .offset:         32
        .size:           8
        .value_kind:     global_buffer
      - .offset:         40
        .size:           4
        .value_kind:     by_value
      - .offset:         44
        .size:           4
        .value_kind:     by_value
      - .actual_access:  read_only
        .address_space:  global
        .offset:         48
        .size:           8
        .value_kind:     global_buffer
      - .offset:         56
        .size:           8
        .value_kind:     by_value
      - .address_space:  global
        .offset:         64
        .size:           8
        .value_kind:     global_buffer
      - .offset:         72
        .size:           4
        .value_kind:     by_value
      - .offset:         76
        .size:           1
        .value_kind:     by_value
    .group_segment_fixed_size: 512
    .kernarg_segment_align: 8
    .kernarg_segment_size: 80
    .language:       OpenCL C
    .language_version:
      - 2
      - 0
    .max_flat_workgroup_size: 64
    .name:           _ZN9rocsparseL22gebsrmvn_mxn_16_kernelILj64ELj16ELj1EdEEvi20rocsparse_direction_NS_24const_host_device_scalarIT2_EEPKiS6_PKS3_iiS8_S4_PS3_21rocsparse_index_base_b
    .private_segment_fixed_size: 0
    .sgpr_count:     18
    .sgpr_spill_count: 0
    .symbol:         _ZN9rocsparseL22gebsrmvn_mxn_16_kernelILj64ELj16ELj1EdEEvi20rocsparse_direction_NS_24const_host_device_scalarIT2_EEPKiS6_PKS3_iiS8_S4_PS3_21rocsparse_index_base_b.kd
    .uniform_work_group_size: 1
    .uses_dynamic_stack: false
    .vgpr_count:     14
    .vgpr_spill_count: 0
    .wavefront_size: 32
  - .args:
      - .offset:         0
        .size:           4
        .value_kind:     by_value
      - .offset:         4
        .size:           4
        .value_kind:     by_value
      - .offset:         8
        .size:           8
        .value_kind:     by_value
      - .actual_access:  read_only
        .address_space:  global
        .offset:         16
        .size:           8
        .value_kind:     global_buffer
      - .actual_access:  read_only
        .address_space:  global
        .offset:         24
        .size:           8
        .value_kind:     global_buffer
      - .actual_access:  read_only
        .address_space:  global
        .offset:         32
        .size:           8
        .value_kind:     global_buffer
      - .offset:         40
        .size:           4
        .value_kind:     by_value
      - .offset:         44
        .size:           4
        .value_kind:     by_value
      - .actual_access:  read_only
        .address_space:  global
        .offset:         48
        .size:           8
        .value_kind:     global_buffer
      - .offset:         56
        .size:           8
        .value_kind:     by_value
      - .address_space:  global
        .offset:         64
        .size:           8
        .value_kind:     global_buffer
      - .offset:         72
        .size:           4
        .value_kind:     by_value
      - .offset:         76
        .size:           1
        .value_kind:     by_value
    .group_segment_fixed_size: 512
    .kernarg_segment_align: 8
    .kernarg_segment_size: 80
    .language:       OpenCL C
    .language_version:
      - 2
      - 0
    .max_flat_workgroup_size: 64
    .name:           _ZN9rocsparseL22gebsrmvn_mxn_16_kernelILj64ELj16ELj2EdEEvi20rocsparse_direction_NS_24const_host_device_scalarIT2_EEPKiS6_PKS3_iiS8_S4_PS3_21rocsparse_index_base_b
    .private_segment_fixed_size: 0
    .sgpr_count:     18
    .sgpr_spill_count: 0
    .symbol:         _ZN9rocsparseL22gebsrmvn_mxn_16_kernelILj64ELj16ELj2EdEEvi20rocsparse_direction_NS_24const_host_device_scalarIT2_EEPKiS6_PKS3_iiS8_S4_PS3_21rocsparse_index_base_b.kd
    .uniform_work_group_size: 1
    .uses_dynamic_stack: false
    .vgpr_count:     16
    .vgpr_spill_count: 0
    .wavefront_size: 32
  - .args:
      - .offset:         0
        .size:           4
        .value_kind:     by_value
      - .offset:         4
        .size:           4
        .value_kind:     by_value
      - .offset:         8
        .size:           8
        .value_kind:     by_value
      - .actual_access:  read_only
        .address_space:  global
        .offset:         16
        .size:           8
        .value_kind:     global_buffer
      - .actual_access:  read_only
        .address_space:  global
        .offset:         24
        .size:           8
        .value_kind:     global_buffer
      - .actual_access:  read_only
        .address_space:  global
        .offset:         32
        .size:           8
        .value_kind:     global_buffer
      - .offset:         40
        .size:           4
        .value_kind:     by_value
      - .offset:         44
        .size:           4
        .value_kind:     by_value
      - .actual_access:  read_only
        .address_space:  global
        .offset:         48
        .size:           8
        .value_kind:     global_buffer
      - .offset:         56
        .size:           8
        .value_kind:     by_value
      - .address_space:  global
        .offset:         64
        .size:           8
        .value_kind:     global_buffer
      - .offset:         72
        .size:           4
        .value_kind:     by_value
      - .offset:         76
        .size:           1
        .value_kind:     by_value
    .group_segment_fixed_size: 384
    .kernarg_segment_align: 8
    .kernarg_segment_size: 80
    .language:       OpenCL C
    .language_version:
      - 2
      - 0
    .max_flat_workgroup_size: 48
    .name:           _ZN9rocsparseL22gebsrmvn_mxn_16_kernelILj48ELj16ELj3EdEEvi20rocsparse_direction_NS_24const_host_device_scalarIT2_EEPKiS6_PKS3_iiS8_S4_PS3_21rocsparse_index_base_b
    .private_segment_fixed_size: 0
    .sgpr_count:     18
    .sgpr_spill_count: 0
    .symbol:         _ZN9rocsparseL22gebsrmvn_mxn_16_kernelILj48ELj16ELj3EdEEvi20rocsparse_direction_NS_24const_host_device_scalarIT2_EEPKiS6_PKS3_iiS8_S4_PS3_21rocsparse_index_base_b.kd
    .uniform_work_group_size: 1
    .uses_dynamic_stack: false
    .vgpr_count:     16
    .vgpr_spill_count: 0
    .wavefront_size: 32
  - .args:
      - .offset:         0
        .size:           4
        .value_kind:     by_value
      - .offset:         4
        .size:           4
        .value_kind:     by_value
      - .offset:         8
        .size:           8
        .value_kind:     by_value
      - .actual_access:  read_only
        .address_space:  global
        .offset:         16
        .size:           8
        .value_kind:     global_buffer
      - .actual_access:  read_only
        .address_space:  global
        .offset:         24
        .size:           8
        .value_kind:     global_buffer
      - .actual_access:  read_only
        .address_space:  global
        .offset:         32
        .size:           8
        .value_kind:     global_buffer
      - .offset:         40
        .size:           4
        .value_kind:     by_value
      - .offset:         44
        .size:           4
        .value_kind:     by_value
      - .actual_access:  read_only
        .address_space:  global
        .offset:         48
        .size:           8
        .value_kind:     global_buffer
      - .offset:         56
        .size:           8
        .value_kind:     by_value
      - .address_space:  global
        .offset:         64
        .size:           8
        .value_kind:     global_buffer
      - .offset:         72
        .size:           4
        .value_kind:     by_value
      - .offset:         76
        .size:           1
        .value_kind:     by_value
    .group_segment_fixed_size: 512
    .kernarg_segment_align: 8
    .kernarg_segment_size: 80
    .language:       OpenCL C
    .language_version:
      - 2
      - 0
    .max_flat_workgroup_size: 64
    .name:           _ZN9rocsparseL22gebsrmvn_mxn_16_kernelILj64ELj16ELj4EdEEvi20rocsparse_direction_NS_24const_host_device_scalarIT2_EEPKiS6_PKS3_iiS8_S4_PS3_21rocsparse_index_base_b
    .private_segment_fixed_size: 0
    .sgpr_count:     18
    .sgpr_spill_count: 0
    .symbol:         _ZN9rocsparseL22gebsrmvn_mxn_16_kernelILj64ELj16ELj4EdEEvi20rocsparse_direction_NS_24const_host_device_scalarIT2_EEPKiS6_PKS3_iiS8_S4_PS3_21rocsparse_index_base_b.kd
    .uniform_work_group_size: 1
    .uses_dynamic_stack: false
    .vgpr_count:     15
    .vgpr_spill_count: 0
    .wavefront_size: 32
  - .args:
      - .offset:         0
        .size:           4
        .value_kind:     by_value
      - .offset:         4
        .size:           4
        .value_kind:     by_value
      - .offset:         8
        .size:           8
        .value_kind:     by_value
      - .actual_access:  read_only
        .address_space:  global
        .offset:         16
        .size:           8
        .value_kind:     global_buffer
      - .actual_access:  read_only
        .address_space:  global
        .offset:         24
        .size:           8
        .value_kind:     global_buffer
      - .actual_access:  read_only
        .address_space:  global
        .offset:         32
        .size:           8
        .value_kind:     global_buffer
      - .offset:         40
        .size:           4
        .value_kind:     by_value
      - .offset:         44
        .size:           4
        .value_kind:     by_value
      - .actual_access:  read_only
        .address_space:  global
        .offset:         48
        .size:           8
        .value_kind:     global_buffer
      - .offset:         56
        .size:           8
        .value_kind:     by_value
      - .address_space:  global
        .offset:         64
        .size:           8
        .value_kind:     global_buffer
      - .offset:         72
        .size:           4
        .value_kind:     by_value
      - .offset:         76
        .size:           1
        .value_kind:     by_value
    .group_segment_fixed_size: 640
    .kernarg_segment_align: 8
    .kernarg_segment_size: 80
    .language:       OpenCL C
    .language_version:
      - 2
      - 0
    .max_flat_workgroup_size: 80
    .name:           _ZN9rocsparseL22gebsrmvn_mxn_16_kernelILj80ELj16ELj5EdEEvi20rocsparse_direction_NS_24const_host_device_scalarIT2_EEPKiS6_PKS3_iiS8_S4_PS3_21rocsparse_index_base_b
    .private_segment_fixed_size: 0
    .sgpr_count:     18
    .sgpr_spill_count: 0
    .symbol:         _ZN9rocsparseL22gebsrmvn_mxn_16_kernelILj80ELj16ELj5EdEEvi20rocsparse_direction_NS_24const_host_device_scalarIT2_EEPKiS6_PKS3_iiS8_S4_PS3_21rocsparse_index_base_b.kd
    .uniform_work_group_size: 1
    .uses_dynamic_stack: false
    .vgpr_count:     16
    .vgpr_spill_count: 0
    .wavefront_size: 32
  - .args:
      - .offset:         0
        .size:           4
        .value_kind:     by_value
      - .offset:         4
        .size:           4
        .value_kind:     by_value
      - .offset:         8
        .size:           8
        .value_kind:     by_value
      - .actual_access:  read_only
        .address_space:  global
        .offset:         16
        .size:           8
        .value_kind:     global_buffer
      - .actual_access:  read_only
        .address_space:  global
        .offset:         24
        .size:           8
        .value_kind:     global_buffer
      - .actual_access:  read_only
        .address_space:  global
        .offset:         32
        .size:           8
        .value_kind:     global_buffer
      - .offset:         40
        .size:           4
        .value_kind:     by_value
      - .offset:         44
        .size:           4
        .value_kind:     by_value
      - .actual_access:  read_only
        .address_space:  global
        .offset:         48
        .size:           8
        .value_kind:     global_buffer
      - .offset:         56
        .size:           8
        .value_kind:     by_value
      - .address_space:  global
        .offset:         64
        .size:           8
        .value_kind:     global_buffer
      - .offset:         72
        .size:           4
        .value_kind:     by_value
      - .offset:         76
        .size:           1
        .value_kind:     by_value
    .group_segment_fixed_size: 768
    .kernarg_segment_align: 8
    .kernarg_segment_size: 80
    .language:       OpenCL C
    .language_version:
      - 2
      - 0
    .max_flat_workgroup_size: 96
    .name:           _ZN9rocsparseL22gebsrmvn_mxn_16_kernelILj96ELj16ELj6EdEEvi20rocsparse_direction_NS_24const_host_device_scalarIT2_EEPKiS6_PKS3_iiS8_S4_PS3_21rocsparse_index_base_b
    .private_segment_fixed_size: 0
    .sgpr_count:     18
    .sgpr_spill_count: 0
    .symbol:         _ZN9rocsparseL22gebsrmvn_mxn_16_kernelILj96ELj16ELj6EdEEvi20rocsparse_direction_NS_24const_host_device_scalarIT2_EEPKiS6_PKS3_iiS8_S4_PS3_21rocsparse_index_base_b.kd
    .uniform_work_group_size: 1
    .uses_dynamic_stack: false
    .vgpr_count:     16
    .vgpr_spill_count: 0
    .wavefront_size: 32
  - .args:
      - .offset:         0
        .size:           4
        .value_kind:     by_value
      - .offset:         4
        .size:           4
        .value_kind:     by_value
      - .offset:         8
        .size:           8
        .value_kind:     by_value
      - .actual_access:  read_only
        .address_space:  global
        .offset:         16
        .size:           8
        .value_kind:     global_buffer
      - .actual_access:  read_only
        .address_space:  global
        .offset:         24
        .size:           8
        .value_kind:     global_buffer
      - .actual_access:  read_only
        .address_space:  global
        .offset:         32
        .size:           8
        .value_kind:     global_buffer
      - .offset:         40
        .size:           4
        .value_kind:     by_value
      - .offset:         44
        .size:           4
        .value_kind:     by_value
      - .actual_access:  read_only
        .address_space:  global
        .offset:         48
        .size:           8
        .value_kind:     global_buffer
      - .offset:         56
        .size:           8
        .value_kind:     by_value
      - .address_space:  global
        .offset:         64
        .size:           8
        .value_kind:     global_buffer
      - .offset:         72
        .size:           4
        .value_kind:     by_value
      - .offset:         76
        .size:           1
        .value_kind:     by_value
    .group_segment_fixed_size: 896
    .kernarg_segment_align: 8
    .kernarg_segment_size: 80
    .language:       OpenCL C
    .language_version:
      - 2
      - 0
    .max_flat_workgroup_size: 112
    .name:           _ZN9rocsparseL22gebsrmvn_mxn_16_kernelILj112ELj16ELj7EdEEvi20rocsparse_direction_NS_24const_host_device_scalarIT2_EEPKiS6_PKS3_iiS8_S4_PS3_21rocsparse_index_base_b
    .private_segment_fixed_size: 0
    .sgpr_count:     18
    .sgpr_spill_count: 0
    .symbol:         _ZN9rocsparseL22gebsrmvn_mxn_16_kernelILj112ELj16ELj7EdEEvi20rocsparse_direction_NS_24const_host_device_scalarIT2_EEPKiS6_PKS3_iiS8_S4_PS3_21rocsparse_index_base_b.kd
    .uniform_work_group_size: 1
    .uses_dynamic_stack: false
    .vgpr_count:     16
    .vgpr_spill_count: 0
    .wavefront_size: 32
  - .args:
      - .offset:         0
        .size:           4
        .value_kind:     by_value
      - .offset:         4
        .size:           4
        .value_kind:     by_value
      - .offset:         8
        .size:           8
        .value_kind:     by_value
      - .actual_access:  read_only
        .address_space:  global
        .offset:         16
        .size:           8
        .value_kind:     global_buffer
      - .actual_access:  read_only
        .address_space:  global
        .offset:         24
        .size:           8
        .value_kind:     global_buffer
      - .actual_access:  read_only
        .address_space:  global
        .offset:         32
        .size:           8
        .value_kind:     global_buffer
      - .offset:         40
        .size:           4
        .value_kind:     by_value
      - .offset:         44
        .size:           4
        .value_kind:     by_value
      - .actual_access:  read_only
        .address_space:  global
        .offset:         48
        .size:           8
        .value_kind:     global_buffer
      - .offset:         56
        .size:           8
        .value_kind:     by_value
      - .address_space:  global
        .offset:         64
        .size:           8
        .value_kind:     global_buffer
      - .offset:         72
        .size:           4
        .value_kind:     by_value
      - .offset:         76
        .size:           1
        .value_kind:     by_value
    .group_segment_fixed_size: 1024
    .kernarg_segment_align: 8
    .kernarg_segment_size: 80
    .language:       OpenCL C
    .language_version:
      - 2
      - 0
    .max_flat_workgroup_size: 128
    .name:           _ZN9rocsparseL22gebsrmvn_mxn_16_kernelILj128ELj16ELj8EdEEvi20rocsparse_direction_NS_24const_host_device_scalarIT2_EEPKiS6_PKS3_iiS8_S4_PS3_21rocsparse_index_base_b
    .private_segment_fixed_size: 0
    .sgpr_count:     18
    .sgpr_spill_count: 0
    .symbol:         _ZN9rocsparseL22gebsrmvn_mxn_16_kernelILj128ELj16ELj8EdEEvi20rocsparse_direction_NS_24const_host_device_scalarIT2_EEPKiS6_PKS3_iiS8_S4_PS3_21rocsparse_index_base_b.kd
    .uniform_work_group_size: 1
    .uses_dynamic_stack: false
    .vgpr_count:     15
    .vgpr_spill_count: 0
    .wavefront_size: 32
  - .args:
      - .offset:         0
        .size:           4
        .value_kind:     by_value
      - .offset:         4
        .size:           4
        .value_kind:     by_value
      - .offset:         8
        .size:           8
        .value_kind:     by_value
      - .actual_access:  read_only
        .address_space:  global
        .offset:         16
        .size:           8
        .value_kind:     global_buffer
      - .actual_access:  read_only
        .address_space:  global
        .offset:         24
        .size:           8
        .value_kind:     global_buffer
      - .actual_access:  read_only
        .address_space:  global
        .offset:         32
        .size:           8
        .value_kind:     global_buffer
      - .offset:         40
        .size:           4
        .value_kind:     by_value
      - .offset:         44
        .size:           4
        .value_kind:     by_value
      - .actual_access:  read_only
        .address_space:  global
        .offset:         48
        .size:           8
        .value_kind:     global_buffer
      - .offset:         56
        .size:           8
        .value_kind:     by_value
      - .address_space:  global
        .offset:         64
        .size:           8
        .value_kind:     global_buffer
      - .offset:         72
        .size:           4
        .value_kind:     by_value
      - .offset:         76
        .size:           1
        .value_kind:     by_value
    .group_segment_fixed_size: 416
    .kernarg_segment_align: 8
    .kernarg_segment_size: 80
    .language:       OpenCL C
    .language_version:
      - 2
      - 0
    .max_flat_workgroup_size: 52
    .name:           _ZN9rocsparseL22gebsrmvn_mxn_16_kernelILj52ELj13ELj1E21rocsparse_complex_numIfEEEvi20rocsparse_direction_NS_24const_host_device_scalarIT2_EEPKiS8_PKS5_iiSA_S6_PS5_21rocsparse_index_base_b
    .private_segment_fixed_size: 0
    .sgpr_count:     18
    .sgpr_spill_count: 0
    .symbol:         _ZN9rocsparseL22gebsrmvn_mxn_16_kernelILj52ELj13ELj1E21rocsparse_complex_numIfEEEvi20rocsparse_direction_NS_24const_host_device_scalarIT2_EEPKiS8_PKS5_iiSA_S6_PS5_21rocsparse_index_base_b.kd
    .uniform_work_group_size: 1
    .uses_dynamic_stack: false
    .vgpr_count:     14
    .vgpr_spill_count: 0
    .wavefront_size: 32
  - .args:
      - .offset:         0
        .size:           4
        .value_kind:     by_value
      - .offset:         4
        .size:           4
        .value_kind:     by_value
      - .offset:         8
        .size:           8
        .value_kind:     by_value
      - .actual_access:  read_only
        .address_space:  global
        .offset:         16
        .size:           8
        .value_kind:     global_buffer
      - .actual_access:  read_only
        .address_space:  global
        .offset:         24
        .size:           8
        .value_kind:     global_buffer
      - .actual_access:  read_only
        .address_space:  global
        .offset:         32
        .size:           8
        .value_kind:     global_buffer
      - .offset:         40
        .size:           4
        .value_kind:     by_value
      - .offset:         44
        .size:           4
        .value_kind:     by_value
      - .actual_access:  read_only
        .address_space:  global
        .offset:         48
        .size:           8
        .value_kind:     global_buffer
      - .offset:         56
        .size:           8
        .value_kind:     by_value
      - .address_space:  global
        .offset:         64
        .size:           8
        .value_kind:     global_buffer
      - .offset:         72
        .size:           4
        .value_kind:     by_value
      - .offset:         76
        .size:           1
        .value_kind:     by_value
    .group_segment_fixed_size: 416
    .kernarg_segment_align: 8
    .kernarg_segment_size: 80
    .language:       OpenCL C
    .language_version:
      - 2
      - 0
    .max_flat_workgroup_size: 52
    .name:           _ZN9rocsparseL22gebsrmvn_mxn_16_kernelILj52ELj13ELj2E21rocsparse_complex_numIfEEEvi20rocsparse_direction_NS_24const_host_device_scalarIT2_EEPKiS8_PKS5_iiSA_S6_PS5_21rocsparse_index_base_b
    .private_segment_fixed_size: 0
    .sgpr_count:     18
    .sgpr_spill_count: 0
    .symbol:         _ZN9rocsparseL22gebsrmvn_mxn_16_kernelILj52ELj13ELj2E21rocsparse_complex_numIfEEEvi20rocsparse_direction_NS_24const_host_device_scalarIT2_EEPKiS8_PKS5_iiSA_S6_PS5_21rocsparse_index_base_b.kd
    .uniform_work_group_size: 1
    .uses_dynamic_stack: false
    .vgpr_count:     16
    .vgpr_spill_count: 0
    .wavefront_size: 32
  - .args:
      - .offset:         0
        .size:           4
        .value_kind:     by_value
      - .offset:         4
        .size:           4
        .value_kind:     by_value
      - .offset:         8
        .size:           8
        .value_kind:     by_value
      - .actual_access:  read_only
        .address_space:  global
        .offset:         16
        .size:           8
        .value_kind:     global_buffer
      - .actual_access:  read_only
        .address_space:  global
        .offset:         24
        .size:           8
        .value_kind:     global_buffer
      - .actual_access:  read_only
        .address_space:  global
        .offset:         32
        .size:           8
        .value_kind:     global_buffer
      - .offset:         40
        .size:           4
        .value_kind:     by_value
      - .offset:         44
        .size:           4
        .value_kind:     by_value
      - .actual_access:  read_only
        .address_space:  global
        .offset:         48
        .size:           8
        .value_kind:     global_buffer
      - .offset:         56
        .size:           8
        .value_kind:     by_value
      - .address_space:  global
        .offset:         64
        .size:           8
        .value_kind:     global_buffer
      - .offset:         72
        .size:           4
        .value_kind:     by_value
      - .offset:         76
        .size:           1
        .value_kind:     by_value
    .group_segment_fixed_size: 312
    .kernarg_segment_align: 8
    .kernarg_segment_size: 80
    .language:       OpenCL C
    .language_version:
      - 2
      - 0
    .max_flat_workgroup_size: 39
    .name:           _ZN9rocsparseL22gebsrmvn_mxn_16_kernelILj39ELj13ELj3E21rocsparse_complex_numIfEEEvi20rocsparse_direction_NS_24const_host_device_scalarIT2_EEPKiS8_PKS5_iiSA_S6_PS5_21rocsparse_index_base_b
    .private_segment_fixed_size: 0
    .sgpr_count:     18
    .sgpr_spill_count: 0
    .symbol:         _ZN9rocsparseL22gebsrmvn_mxn_16_kernelILj39ELj13ELj3E21rocsparse_complex_numIfEEEvi20rocsparse_direction_NS_24const_host_device_scalarIT2_EEPKiS8_PKS5_iiSA_S6_PS5_21rocsparse_index_base_b.kd
    .uniform_work_group_size: 1
    .uses_dynamic_stack: false
    .vgpr_count:     16
    .vgpr_spill_count: 0
    .wavefront_size: 32
  - .args:
      - .offset:         0
        .size:           4
        .value_kind:     by_value
      - .offset:         4
        .size:           4
        .value_kind:     by_value
      - .offset:         8
        .size:           8
        .value_kind:     by_value
      - .actual_access:  read_only
        .address_space:  global
        .offset:         16
        .size:           8
        .value_kind:     global_buffer
      - .actual_access:  read_only
        .address_space:  global
        .offset:         24
        .size:           8
        .value_kind:     global_buffer
      - .actual_access:  read_only
        .address_space:  global
        .offset:         32
        .size:           8
        .value_kind:     global_buffer
      - .offset:         40
        .size:           4
        .value_kind:     by_value
      - .offset:         44
        .size:           4
        .value_kind:     by_value
      - .actual_access:  read_only
        .address_space:  global
        .offset:         48
        .size:           8
        .value_kind:     global_buffer
      - .offset:         56
        .size:           8
        .value_kind:     by_value
      - .address_space:  global
        .offset:         64
        .size:           8
        .value_kind:     global_buffer
      - .offset:         72
        .size:           4
        .value_kind:     by_value
      - .offset:         76
        .size:           1
        .value_kind:     by_value
    .group_segment_fixed_size: 416
    .kernarg_segment_align: 8
    .kernarg_segment_size: 80
    .language:       OpenCL C
    .language_version:
      - 2
      - 0
    .max_flat_workgroup_size: 52
    .name:           _ZN9rocsparseL22gebsrmvn_mxn_16_kernelILj52ELj13ELj4E21rocsparse_complex_numIfEEEvi20rocsparse_direction_NS_24const_host_device_scalarIT2_EEPKiS8_PKS5_iiSA_S6_PS5_21rocsparse_index_base_b
    .private_segment_fixed_size: 0
    .sgpr_count:     18
    .sgpr_spill_count: 0
    .symbol:         _ZN9rocsparseL22gebsrmvn_mxn_16_kernelILj52ELj13ELj4E21rocsparse_complex_numIfEEEvi20rocsparse_direction_NS_24const_host_device_scalarIT2_EEPKiS8_PKS5_iiSA_S6_PS5_21rocsparse_index_base_b.kd
    .uniform_work_group_size: 1
    .uses_dynamic_stack: false
    .vgpr_count:     16
    .vgpr_spill_count: 0
    .wavefront_size: 32
  - .args:
      - .offset:         0
        .size:           4
        .value_kind:     by_value
      - .offset:         4
        .size:           4
        .value_kind:     by_value
      - .offset:         8
        .size:           8
        .value_kind:     by_value
      - .actual_access:  read_only
        .address_space:  global
        .offset:         16
        .size:           8
        .value_kind:     global_buffer
      - .actual_access:  read_only
        .address_space:  global
        .offset:         24
        .size:           8
        .value_kind:     global_buffer
      - .actual_access:  read_only
        .address_space:  global
        .offset:         32
        .size:           8
        .value_kind:     global_buffer
      - .offset:         40
        .size:           4
        .value_kind:     by_value
      - .offset:         44
        .size:           4
        .value_kind:     by_value
      - .actual_access:  read_only
        .address_space:  global
        .offset:         48
        .size:           8
        .value_kind:     global_buffer
      - .offset:         56
        .size:           8
        .value_kind:     by_value
      - .address_space:  global
        .offset:         64
        .size:           8
        .value_kind:     global_buffer
      - .offset:         72
        .size:           4
        .value_kind:     by_value
      - .offset:         76
        .size:           1
        .value_kind:     by_value
    .group_segment_fixed_size: 520
    .kernarg_segment_align: 8
    .kernarg_segment_size: 80
    .language:       OpenCL C
    .language_version:
      - 2
      - 0
    .max_flat_workgroup_size: 65
    .name:           _ZN9rocsparseL22gebsrmvn_mxn_16_kernelILj65ELj13ELj5E21rocsparse_complex_numIfEEEvi20rocsparse_direction_NS_24const_host_device_scalarIT2_EEPKiS8_PKS5_iiSA_S6_PS5_21rocsparse_index_base_b
    .private_segment_fixed_size: 0
    .sgpr_count:     18
    .sgpr_spill_count: 0
    .symbol:         _ZN9rocsparseL22gebsrmvn_mxn_16_kernelILj65ELj13ELj5E21rocsparse_complex_numIfEEEvi20rocsparse_direction_NS_24const_host_device_scalarIT2_EEPKiS8_PKS5_iiSA_S6_PS5_21rocsparse_index_base_b.kd
    .uniform_work_group_size: 1
    .uses_dynamic_stack: false
    .vgpr_count:     16
    .vgpr_spill_count: 0
    .wavefront_size: 32
  - .args:
      - .offset:         0
        .size:           4
        .value_kind:     by_value
      - .offset:         4
        .size:           4
        .value_kind:     by_value
      - .offset:         8
        .size:           8
        .value_kind:     by_value
      - .actual_access:  read_only
        .address_space:  global
        .offset:         16
        .size:           8
        .value_kind:     global_buffer
      - .actual_access:  read_only
        .address_space:  global
        .offset:         24
        .size:           8
        .value_kind:     global_buffer
      - .actual_access:  read_only
        .address_space:  global
        .offset:         32
        .size:           8
        .value_kind:     global_buffer
      - .offset:         40
        .size:           4
        .value_kind:     by_value
      - .offset:         44
        .size:           4
        .value_kind:     by_value
      - .actual_access:  read_only
        .address_space:  global
        .offset:         48
        .size:           8
        .value_kind:     global_buffer
      - .offset:         56
        .size:           8
        .value_kind:     by_value
      - .address_space:  global
        .offset:         64
        .size:           8
        .value_kind:     global_buffer
      - .offset:         72
        .size:           4
        .value_kind:     by_value
      - .offset:         76
        .size:           1
        .value_kind:     by_value
    .group_segment_fixed_size: 624
    .kernarg_segment_align: 8
    .kernarg_segment_size: 80
    .language:       OpenCL C
    .language_version:
      - 2
      - 0
    .max_flat_workgroup_size: 78
    .name:           _ZN9rocsparseL22gebsrmvn_mxn_16_kernelILj78ELj13ELj6E21rocsparse_complex_numIfEEEvi20rocsparse_direction_NS_24const_host_device_scalarIT2_EEPKiS8_PKS5_iiSA_S6_PS5_21rocsparse_index_base_b
    .private_segment_fixed_size: 0
    .sgpr_count:     18
    .sgpr_spill_count: 0
    .symbol:         _ZN9rocsparseL22gebsrmvn_mxn_16_kernelILj78ELj13ELj6E21rocsparse_complex_numIfEEEvi20rocsparse_direction_NS_24const_host_device_scalarIT2_EEPKiS8_PKS5_iiSA_S6_PS5_21rocsparse_index_base_b.kd
    .uniform_work_group_size: 1
    .uses_dynamic_stack: false
    .vgpr_count:     16
    .vgpr_spill_count: 0
    .wavefront_size: 32
  - .args:
      - .offset:         0
        .size:           4
        .value_kind:     by_value
      - .offset:         4
        .size:           4
        .value_kind:     by_value
      - .offset:         8
        .size:           8
        .value_kind:     by_value
      - .actual_access:  read_only
        .address_space:  global
        .offset:         16
        .size:           8
        .value_kind:     global_buffer
      - .actual_access:  read_only
        .address_space:  global
        .offset:         24
        .size:           8
        .value_kind:     global_buffer
      - .actual_access:  read_only
        .address_space:  global
        .offset:         32
        .size:           8
        .value_kind:     global_buffer
      - .offset:         40
        .size:           4
        .value_kind:     by_value
      - .offset:         44
        .size:           4
        .value_kind:     by_value
      - .actual_access:  read_only
        .address_space:  global
        .offset:         48
        .size:           8
        .value_kind:     global_buffer
      - .offset:         56
        .size:           8
        .value_kind:     by_value
      - .address_space:  global
        .offset:         64
        .size:           8
        .value_kind:     global_buffer
      - .offset:         72
        .size:           4
        .value_kind:     by_value
      - .offset:         76
        .size:           1
        .value_kind:     by_value
    .group_segment_fixed_size: 728
    .kernarg_segment_align: 8
    .kernarg_segment_size: 80
    .language:       OpenCL C
    .language_version:
      - 2
      - 0
    .max_flat_workgroup_size: 91
    .name:           _ZN9rocsparseL22gebsrmvn_mxn_16_kernelILj91ELj13ELj7E21rocsparse_complex_numIfEEEvi20rocsparse_direction_NS_24const_host_device_scalarIT2_EEPKiS8_PKS5_iiSA_S6_PS5_21rocsparse_index_base_b
    .private_segment_fixed_size: 0
    .sgpr_count:     18
    .sgpr_spill_count: 0
    .symbol:         _ZN9rocsparseL22gebsrmvn_mxn_16_kernelILj91ELj13ELj7E21rocsparse_complex_numIfEEEvi20rocsparse_direction_NS_24const_host_device_scalarIT2_EEPKiS8_PKS5_iiSA_S6_PS5_21rocsparse_index_base_b.kd
    .uniform_work_group_size: 1
    .uses_dynamic_stack: false
    .vgpr_count:     16
    .vgpr_spill_count: 0
    .wavefront_size: 32
  - .args:
      - .offset:         0
        .size:           4
        .value_kind:     by_value
      - .offset:         4
        .size:           4
        .value_kind:     by_value
      - .offset:         8
        .size:           8
        .value_kind:     by_value
      - .actual_access:  read_only
        .address_space:  global
        .offset:         16
        .size:           8
        .value_kind:     global_buffer
      - .actual_access:  read_only
        .address_space:  global
        .offset:         24
        .size:           8
        .value_kind:     global_buffer
      - .actual_access:  read_only
        .address_space:  global
        .offset:         32
        .size:           8
        .value_kind:     global_buffer
      - .offset:         40
        .size:           4
        .value_kind:     by_value
      - .offset:         44
        .size:           4
        .value_kind:     by_value
      - .actual_access:  read_only
        .address_space:  global
        .offset:         48
        .size:           8
        .value_kind:     global_buffer
      - .offset:         56
        .size:           8
        .value_kind:     by_value
      - .address_space:  global
        .offset:         64
        .size:           8
        .value_kind:     global_buffer
      - .offset:         72
        .size:           4
        .value_kind:     by_value
      - .offset:         76
        .size:           1
        .value_kind:     by_value
    .group_segment_fixed_size: 832
    .kernarg_segment_align: 8
    .kernarg_segment_size: 80
    .language:       OpenCL C
    .language_version:
      - 2
      - 0
    .max_flat_workgroup_size: 104
    .name:           _ZN9rocsparseL22gebsrmvn_mxn_16_kernelILj104ELj13ELj8E21rocsparse_complex_numIfEEEvi20rocsparse_direction_NS_24const_host_device_scalarIT2_EEPKiS8_PKS5_iiSA_S6_PS5_21rocsparse_index_base_b
    .private_segment_fixed_size: 0
    .sgpr_count:     18
    .sgpr_spill_count: 0
    .symbol:         _ZN9rocsparseL22gebsrmvn_mxn_16_kernelILj104ELj13ELj8E21rocsparse_complex_numIfEEEvi20rocsparse_direction_NS_24const_host_device_scalarIT2_EEPKiS8_PKS5_iiSA_S6_PS5_21rocsparse_index_base_b.kd
    .uniform_work_group_size: 1
    .uses_dynamic_stack: false
    .vgpr_count:     16
    .vgpr_spill_count: 0
    .wavefront_size: 32
  - .args:
      - .offset:         0
        .size:           4
        .value_kind:     by_value
      - .offset:         4
        .size:           4
        .value_kind:     by_value
      - .offset:         8
        .size:           8
        .value_kind:     by_value
      - .actual_access:  read_only
        .address_space:  global
        .offset:         16
        .size:           8
        .value_kind:     global_buffer
      - .actual_access:  read_only
        .address_space:  global
        .offset:         24
        .size:           8
        .value_kind:     global_buffer
      - .actual_access:  read_only
        .address_space:  global
        .offset:         32
        .size:           8
        .value_kind:     global_buffer
      - .offset:         40
        .size:           4
        .value_kind:     by_value
      - .offset:         44
        .size:           4
        .value_kind:     by_value
      - .actual_access:  read_only
        .address_space:  global
        .offset:         48
        .size:           8
        .value_kind:     global_buffer
      - .offset:         56
        .size:           8
        .value_kind:     by_value
      - .address_space:  global
        .offset:         64
        .size:           8
        .value_kind:     global_buffer
      - .offset:         72
        .size:           4
        .value_kind:     by_value
      - .offset:         76
        .size:           1
        .value_kind:     by_value
    .group_segment_fixed_size: 0
    .kernarg_segment_align: 8
    .kernarg_segment_size: 80
    .language:       OpenCL C
    .language_version:
      - 2
      - 0
    .max_flat_workgroup_size: 256
    .name:           _ZN9rocsparseL23gebsrmvn_general_kernelILj256ELj16E21rocsparse_complex_numIfEEEvi20rocsparse_direction_NS_24const_host_device_scalarIT1_EEPKiS8_PKS5_iiSA_S6_PS5_21rocsparse_index_base_b
    .private_segment_fixed_size: 0
    .sgpr_count:     30
    .sgpr_spill_count: 0
    .symbol:         _ZN9rocsparseL23gebsrmvn_general_kernelILj256ELj16E21rocsparse_complex_numIfEEEvi20rocsparse_direction_NS_24const_host_device_scalarIT1_EEPKiS8_PKS5_iiSA_S6_PS5_21rocsparse_index_base_b.kd
    .uniform_work_group_size: 1
    .uses_dynamic_stack: false
    .vgpr_count:     25
    .vgpr_spill_count: 0
    .wavefront_size: 32
  - .args:
      - .offset:         0
        .size:           4
        .value_kind:     by_value
      - .offset:         4
        .size:           4
        .value_kind:     by_value
      - .offset:         8
        .size:           8
        .value_kind:     by_value
      - .actual_access:  read_only
        .address_space:  global
        .offset:         16
        .size:           8
        .value_kind:     global_buffer
      - .actual_access:  read_only
        .address_space:  global
        .offset:         24
        .size:           8
        .value_kind:     global_buffer
      - .actual_access:  read_only
        .address_space:  global
        .offset:         32
        .size:           8
        .value_kind:     global_buffer
      - .offset:         40
        .size:           4
        .value_kind:     by_value
      - .offset:         44
        .size:           4
        .value_kind:     by_value
      - .actual_access:  read_only
        .address_space:  global
        .offset:         48
        .size:           8
        .value_kind:     global_buffer
      - .offset:         56
        .size:           8
        .value_kind:     by_value
      - .address_space:  global
        .offset:         64
        .size:           8
        .value_kind:     global_buffer
      - .offset:         72
        .size:           4
        .value_kind:     by_value
      - .offset:         76
        .size:           1
        .value_kind:     by_value
    .group_segment_fixed_size: 0
    .kernarg_segment_align: 8
    .kernarg_segment_size: 80
    .language:       OpenCL C
    .language_version:
      - 2
      - 0
    .max_flat_workgroup_size: 512
    .name:           _ZN9rocsparseL23gebsrmvn_general_kernelILj512ELj32E21rocsparse_complex_numIfEEEvi20rocsparse_direction_NS_24const_host_device_scalarIT1_EEPKiS8_PKS5_iiSA_S6_PS5_21rocsparse_index_base_b
    .private_segment_fixed_size: 0
    .sgpr_count:     30
    .sgpr_spill_count: 0
    .symbol:         _ZN9rocsparseL23gebsrmvn_general_kernelILj512ELj32E21rocsparse_complex_numIfEEEvi20rocsparse_direction_NS_24const_host_device_scalarIT1_EEPKiS8_PKS5_iiSA_S6_PS5_21rocsparse_index_base_b.kd
    .uniform_work_group_size: 1
    .uses_dynamic_stack: false
    .vgpr_count:     26
    .vgpr_spill_count: 0
    .wavefront_size: 32
  - .args:
      - .offset:         0
        .size:           4
        .value_kind:     by_value
      - .offset:         4
        .size:           4
        .value_kind:     by_value
      - .offset:         8
        .size:           8
        .value_kind:     by_value
      - .actual_access:  read_only
        .address_space:  global
        .offset:         16
        .size:           8
        .value_kind:     global_buffer
      - .actual_access:  read_only
        .address_space:  global
        .offset:         24
        .size:           8
        .value_kind:     global_buffer
      - .actual_access:  read_only
        .address_space:  global
        .offset:         32
        .size:           8
        .value_kind:     global_buffer
      - .offset:         40
        .size:           4
        .value_kind:     by_value
      - .offset:         44
        .size:           4
        .value_kind:     by_value
      - .actual_access:  read_only
        .address_space:  global
        .offset:         48
        .size:           8
        .value_kind:     global_buffer
      - .offset:         56
        .size:           8
        .value_kind:     by_value
      - .address_space:  global
        .offset:         64
        .size:           8
        .value_kind:     global_buffer
      - .offset:         72
        .size:           4
        .value_kind:     by_value
      - .offset:         76
        .size:           1
        .value_kind:     by_value
    .group_segment_fixed_size: 448
    .kernarg_segment_align: 8
    .kernarg_segment_size: 80
    .language:       OpenCL C
    .language_version:
      - 2
      - 0
    .max_flat_workgroup_size: 56
    .name:           _ZN9rocsparseL22gebsrmvn_mxn_16_kernelILj56ELj14ELj1E21rocsparse_complex_numIfEEEvi20rocsparse_direction_NS_24const_host_device_scalarIT2_EEPKiS8_PKS5_iiSA_S6_PS5_21rocsparse_index_base_b
    .private_segment_fixed_size: 0
    .sgpr_count:     18
    .sgpr_spill_count: 0
    .symbol:         _ZN9rocsparseL22gebsrmvn_mxn_16_kernelILj56ELj14ELj1E21rocsparse_complex_numIfEEEvi20rocsparse_direction_NS_24const_host_device_scalarIT2_EEPKiS8_PKS5_iiSA_S6_PS5_21rocsparse_index_base_b.kd
    .uniform_work_group_size: 1
    .uses_dynamic_stack: false
    .vgpr_count:     14
    .vgpr_spill_count: 0
    .wavefront_size: 32
  - .args:
      - .offset:         0
        .size:           4
        .value_kind:     by_value
      - .offset:         4
        .size:           4
        .value_kind:     by_value
      - .offset:         8
        .size:           8
        .value_kind:     by_value
      - .actual_access:  read_only
        .address_space:  global
        .offset:         16
        .size:           8
        .value_kind:     global_buffer
      - .actual_access:  read_only
        .address_space:  global
        .offset:         24
        .size:           8
        .value_kind:     global_buffer
      - .actual_access:  read_only
        .address_space:  global
        .offset:         32
        .size:           8
        .value_kind:     global_buffer
      - .offset:         40
        .size:           4
        .value_kind:     by_value
      - .offset:         44
        .size:           4
        .value_kind:     by_value
      - .actual_access:  read_only
        .address_space:  global
        .offset:         48
        .size:           8
        .value_kind:     global_buffer
      - .offset:         56
        .size:           8
        .value_kind:     by_value
      - .address_space:  global
        .offset:         64
        .size:           8
        .value_kind:     global_buffer
      - .offset:         72
        .size:           4
        .value_kind:     by_value
      - .offset:         76
        .size:           1
        .value_kind:     by_value
    .group_segment_fixed_size: 448
    .kernarg_segment_align: 8
    .kernarg_segment_size: 80
    .language:       OpenCL C
    .language_version:
      - 2
      - 0
    .max_flat_workgroup_size: 56
    .name:           _ZN9rocsparseL22gebsrmvn_mxn_16_kernelILj56ELj14ELj2E21rocsparse_complex_numIfEEEvi20rocsparse_direction_NS_24const_host_device_scalarIT2_EEPKiS8_PKS5_iiSA_S6_PS5_21rocsparse_index_base_b
    .private_segment_fixed_size: 0
    .sgpr_count:     18
    .sgpr_spill_count: 0
    .symbol:         _ZN9rocsparseL22gebsrmvn_mxn_16_kernelILj56ELj14ELj2E21rocsparse_complex_numIfEEEvi20rocsparse_direction_NS_24const_host_device_scalarIT2_EEPKiS8_PKS5_iiSA_S6_PS5_21rocsparse_index_base_b.kd
    .uniform_work_group_size: 1
    .uses_dynamic_stack: false
    .vgpr_count:     16
    .vgpr_spill_count: 0
    .wavefront_size: 32
  - .args:
      - .offset:         0
        .size:           4
        .value_kind:     by_value
      - .offset:         4
        .size:           4
        .value_kind:     by_value
      - .offset:         8
        .size:           8
        .value_kind:     by_value
      - .actual_access:  read_only
        .address_space:  global
        .offset:         16
        .size:           8
        .value_kind:     global_buffer
      - .actual_access:  read_only
        .address_space:  global
        .offset:         24
        .size:           8
        .value_kind:     global_buffer
      - .actual_access:  read_only
        .address_space:  global
        .offset:         32
        .size:           8
        .value_kind:     global_buffer
      - .offset:         40
        .size:           4
        .value_kind:     by_value
      - .offset:         44
        .size:           4
        .value_kind:     by_value
      - .actual_access:  read_only
        .address_space:  global
        .offset:         48
        .size:           8
        .value_kind:     global_buffer
      - .offset:         56
        .size:           8
        .value_kind:     by_value
      - .address_space:  global
        .offset:         64
        .size:           8
        .value_kind:     global_buffer
      - .offset:         72
        .size:           4
        .value_kind:     by_value
      - .offset:         76
        .size:           1
        .value_kind:     by_value
    .group_segment_fixed_size: 336
    .kernarg_segment_align: 8
    .kernarg_segment_size: 80
    .language:       OpenCL C
    .language_version:
      - 2
      - 0
    .max_flat_workgroup_size: 42
    .name:           _ZN9rocsparseL22gebsrmvn_mxn_16_kernelILj42ELj14ELj3E21rocsparse_complex_numIfEEEvi20rocsparse_direction_NS_24const_host_device_scalarIT2_EEPKiS8_PKS5_iiSA_S6_PS5_21rocsparse_index_base_b
    .private_segment_fixed_size: 0
    .sgpr_count:     18
    .sgpr_spill_count: 0
    .symbol:         _ZN9rocsparseL22gebsrmvn_mxn_16_kernelILj42ELj14ELj3E21rocsparse_complex_numIfEEEvi20rocsparse_direction_NS_24const_host_device_scalarIT2_EEPKiS8_PKS5_iiSA_S6_PS5_21rocsparse_index_base_b.kd
    .uniform_work_group_size: 1
    .uses_dynamic_stack: false
    .vgpr_count:     16
    .vgpr_spill_count: 0
    .wavefront_size: 32
  - .args:
      - .offset:         0
        .size:           4
        .value_kind:     by_value
      - .offset:         4
        .size:           4
        .value_kind:     by_value
      - .offset:         8
        .size:           8
        .value_kind:     by_value
      - .actual_access:  read_only
        .address_space:  global
        .offset:         16
        .size:           8
        .value_kind:     global_buffer
      - .actual_access:  read_only
        .address_space:  global
        .offset:         24
        .size:           8
        .value_kind:     global_buffer
      - .actual_access:  read_only
        .address_space:  global
        .offset:         32
        .size:           8
        .value_kind:     global_buffer
      - .offset:         40
        .size:           4
        .value_kind:     by_value
      - .offset:         44
        .size:           4
        .value_kind:     by_value
      - .actual_access:  read_only
        .address_space:  global
        .offset:         48
        .size:           8
        .value_kind:     global_buffer
      - .offset:         56
        .size:           8
        .value_kind:     by_value
      - .address_space:  global
        .offset:         64
        .size:           8
        .value_kind:     global_buffer
      - .offset:         72
        .size:           4
        .value_kind:     by_value
      - .offset:         76
        .size:           1
        .value_kind:     by_value
    .group_segment_fixed_size: 448
    .kernarg_segment_align: 8
    .kernarg_segment_size: 80
    .language:       OpenCL C
    .language_version:
      - 2
      - 0
    .max_flat_workgroup_size: 56
    .name:           _ZN9rocsparseL22gebsrmvn_mxn_16_kernelILj56ELj14ELj4E21rocsparse_complex_numIfEEEvi20rocsparse_direction_NS_24const_host_device_scalarIT2_EEPKiS8_PKS5_iiSA_S6_PS5_21rocsparse_index_base_b
    .private_segment_fixed_size: 0
    .sgpr_count:     18
    .sgpr_spill_count: 0
    .symbol:         _ZN9rocsparseL22gebsrmvn_mxn_16_kernelILj56ELj14ELj4E21rocsparse_complex_numIfEEEvi20rocsparse_direction_NS_24const_host_device_scalarIT2_EEPKiS8_PKS5_iiSA_S6_PS5_21rocsparse_index_base_b.kd
    .uniform_work_group_size: 1
    .uses_dynamic_stack: false
    .vgpr_count:     16
    .vgpr_spill_count: 0
    .wavefront_size: 32
  - .args:
      - .offset:         0
        .size:           4
        .value_kind:     by_value
      - .offset:         4
        .size:           4
        .value_kind:     by_value
      - .offset:         8
        .size:           8
        .value_kind:     by_value
      - .actual_access:  read_only
        .address_space:  global
        .offset:         16
        .size:           8
        .value_kind:     global_buffer
      - .actual_access:  read_only
        .address_space:  global
        .offset:         24
        .size:           8
        .value_kind:     global_buffer
      - .actual_access:  read_only
        .address_space:  global
        .offset:         32
        .size:           8
        .value_kind:     global_buffer
      - .offset:         40
        .size:           4
        .value_kind:     by_value
      - .offset:         44
        .size:           4
        .value_kind:     by_value
      - .actual_access:  read_only
        .address_space:  global
        .offset:         48
        .size:           8
        .value_kind:     global_buffer
      - .offset:         56
        .size:           8
        .value_kind:     by_value
      - .address_space:  global
        .offset:         64
        .size:           8
        .value_kind:     global_buffer
      - .offset:         72
        .size:           4
        .value_kind:     by_value
      - .offset:         76
        .size:           1
        .value_kind:     by_value
    .group_segment_fixed_size: 560
    .kernarg_segment_align: 8
    .kernarg_segment_size: 80
    .language:       OpenCL C
    .language_version:
      - 2
      - 0
    .max_flat_workgroup_size: 70
    .name:           _ZN9rocsparseL22gebsrmvn_mxn_16_kernelILj70ELj14ELj5E21rocsparse_complex_numIfEEEvi20rocsparse_direction_NS_24const_host_device_scalarIT2_EEPKiS8_PKS5_iiSA_S6_PS5_21rocsparse_index_base_b
    .private_segment_fixed_size: 0
    .sgpr_count:     18
    .sgpr_spill_count: 0
    .symbol:         _ZN9rocsparseL22gebsrmvn_mxn_16_kernelILj70ELj14ELj5E21rocsparse_complex_numIfEEEvi20rocsparse_direction_NS_24const_host_device_scalarIT2_EEPKiS8_PKS5_iiSA_S6_PS5_21rocsparse_index_base_b.kd
    .uniform_work_group_size: 1
    .uses_dynamic_stack: false
    .vgpr_count:     16
    .vgpr_spill_count: 0
    .wavefront_size: 32
  - .args:
      - .offset:         0
        .size:           4
        .value_kind:     by_value
      - .offset:         4
        .size:           4
        .value_kind:     by_value
      - .offset:         8
        .size:           8
        .value_kind:     by_value
      - .actual_access:  read_only
        .address_space:  global
        .offset:         16
        .size:           8
        .value_kind:     global_buffer
      - .actual_access:  read_only
        .address_space:  global
        .offset:         24
        .size:           8
        .value_kind:     global_buffer
      - .actual_access:  read_only
        .address_space:  global
        .offset:         32
        .size:           8
        .value_kind:     global_buffer
      - .offset:         40
        .size:           4
        .value_kind:     by_value
      - .offset:         44
        .size:           4
        .value_kind:     by_value
      - .actual_access:  read_only
        .address_space:  global
        .offset:         48
        .size:           8
        .value_kind:     global_buffer
      - .offset:         56
        .size:           8
        .value_kind:     by_value
      - .address_space:  global
        .offset:         64
        .size:           8
        .value_kind:     global_buffer
      - .offset:         72
        .size:           4
        .value_kind:     by_value
      - .offset:         76
        .size:           1
        .value_kind:     by_value
    .group_segment_fixed_size: 672
    .kernarg_segment_align: 8
    .kernarg_segment_size: 80
    .language:       OpenCL C
    .language_version:
      - 2
      - 0
    .max_flat_workgroup_size: 84
    .name:           _ZN9rocsparseL22gebsrmvn_mxn_16_kernelILj84ELj14ELj6E21rocsparse_complex_numIfEEEvi20rocsparse_direction_NS_24const_host_device_scalarIT2_EEPKiS8_PKS5_iiSA_S6_PS5_21rocsparse_index_base_b
    .private_segment_fixed_size: 0
    .sgpr_count:     18
    .sgpr_spill_count: 0
    .symbol:         _ZN9rocsparseL22gebsrmvn_mxn_16_kernelILj84ELj14ELj6E21rocsparse_complex_numIfEEEvi20rocsparse_direction_NS_24const_host_device_scalarIT2_EEPKiS8_PKS5_iiSA_S6_PS5_21rocsparse_index_base_b.kd
    .uniform_work_group_size: 1
    .uses_dynamic_stack: false
    .vgpr_count:     16
    .vgpr_spill_count: 0
    .wavefront_size: 32
  - .args:
      - .offset:         0
        .size:           4
        .value_kind:     by_value
      - .offset:         4
        .size:           4
        .value_kind:     by_value
      - .offset:         8
        .size:           8
        .value_kind:     by_value
      - .actual_access:  read_only
        .address_space:  global
        .offset:         16
        .size:           8
        .value_kind:     global_buffer
      - .actual_access:  read_only
        .address_space:  global
        .offset:         24
        .size:           8
        .value_kind:     global_buffer
      - .actual_access:  read_only
        .address_space:  global
        .offset:         32
        .size:           8
        .value_kind:     global_buffer
      - .offset:         40
        .size:           4
        .value_kind:     by_value
      - .offset:         44
        .size:           4
        .value_kind:     by_value
      - .actual_access:  read_only
        .address_space:  global
        .offset:         48
        .size:           8
        .value_kind:     global_buffer
      - .offset:         56
        .size:           8
        .value_kind:     by_value
      - .address_space:  global
        .offset:         64
        .size:           8
        .value_kind:     global_buffer
      - .offset:         72
        .size:           4
        .value_kind:     by_value
      - .offset:         76
        .size:           1
        .value_kind:     by_value
    .group_segment_fixed_size: 784
    .kernarg_segment_align: 8
    .kernarg_segment_size: 80
    .language:       OpenCL C
    .language_version:
      - 2
      - 0
    .max_flat_workgroup_size: 98
    .name:           _ZN9rocsparseL22gebsrmvn_mxn_16_kernelILj98ELj14ELj7E21rocsparse_complex_numIfEEEvi20rocsparse_direction_NS_24const_host_device_scalarIT2_EEPKiS8_PKS5_iiSA_S6_PS5_21rocsparse_index_base_b
    .private_segment_fixed_size: 0
    .sgpr_count:     18
    .sgpr_spill_count: 0
    .symbol:         _ZN9rocsparseL22gebsrmvn_mxn_16_kernelILj98ELj14ELj7E21rocsparse_complex_numIfEEEvi20rocsparse_direction_NS_24const_host_device_scalarIT2_EEPKiS8_PKS5_iiSA_S6_PS5_21rocsparse_index_base_b.kd
    .uniform_work_group_size: 1
    .uses_dynamic_stack: false
    .vgpr_count:     16
    .vgpr_spill_count: 0
    .wavefront_size: 32
  - .args:
      - .offset:         0
        .size:           4
        .value_kind:     by_value
      - .offset:         4
        .size:           4
        .value_kind:     by_value
      - .offset:         8
        .size:           8
        .value_kind:     by_value
      - .actual_access:  read_only
        .address_space:  global
        .offset:         16
        .size:           8
        .value_kind:     global_buffer
      - .actual_access:  read_only
        .address_space:  global
        .offset:         24
        .size:           8
        .value_kind:     global_buffer
      - .actual_access:  read_only
        .address_space:  global
        .offset:         32
        .size:           8
        .value_kind:     global_buffer
      - .offset:         40
        .size:           4
        .value_kind:     by_value
      - .offset:         44
        .size:           4
        .value_kind:     by_value
      - .actual_access:  read_only
        .address_space:  global
        .offset:         48
        .size:           8
        .value_kind:     global_buffer
      - .offset:         56
        .size:           8
        .value_kind:     by_value
      - .address_space:  global
        .offset:         64
        .size:           8
        .value_kind:     global_buffer
      - .offset:         72
        .size:           4
        .value_kind:     by_value
      - .offset:         76
        .size:           1
        .value_kind:     by_value
    .group_segment_fixed_size: 896
    .kernarg_segment_align: 8
    .kernarg_segment_size: 80
    .language:       OpenCL C
    .language_version:
      - 2
      - 0
    .max_flat_workgroup_size: 112
    .name:           _ZN9rocsparseL22gebsrmvn_mxn_16_kernelILj112ELj14ELj8E21rocsparse_complex_numIfEEEvi20rocsparse_direction_NS_24const_host_device_scalarIT2_EEPKiS8_PKS5_iiSA_S6_PS5_21rocsparse_index_base_b
    .private_segment_fixed_size: 0
    .sgpr_count:     18
    .sgpr_spill_count: 0
    .symbol:         _ZN9rocsparseL22gebsrmvn_mxn_16_kernelILj112ELj14ELj8E21rocsparse_complex_numIfEEEvi20rocsparse_direction_NS_24const_host_device_scalarIT2_EEPKiS8_PKS5_iiSA_S6_PS5_21rocsparse_index_base_b.kd
    .uniform_work_group_size: 1
    .uses_dynamic_stack: false
    .vgpr_count:     16
    .vgpr_spill_count: 0
    .wavefront_size: 32
  - .args:
      - .offset:         0
        .size:           4
        .value_kind:     by_value
      - .offset:         4
        .size:           4
        .value_kind:     by_value
      - .offset:         8
        .size:           8
        .value_kind:     by_value
      - .actual_access:  read_only
        .address_space:  global
        .offset:         16
        .size:           8
        .value_kind:     global_buffer
      - .actual_access:  read_only
        .address_space:  global
        .offset:         24
        .size:           8
        .value_kind:     global_buffer
      - .actual_access:  read_only
        .address_space:  global
        .offset:         32
        .size:           8
        .value_kind:     global_buffer
      - .offset:         40
        .size:           4
        .value_kind:     by_value
      - .offset:         44
        .size:           4
        .value_kind:     by_value
      - .actual_access:  read_only
        .address_space:  global
        .offset:         48
        .size:           8
        .value_kind:     global_buffer
      - .offset:         56
        .size:           8
        .value_kind:     by_value
      - .address_space:  global
        .offset:         64
        .size:           8
        .value_kind:     global_buffer
      - .offset:         72
        .size:           4
        .value_kind:     by_value
      - .offset:         76
        .size:           1
        .value_kind:     by_value
    .group_segment_fixed_size: 480
    .kernarg_segment_align: 8
    .kernarg_segment_size: 80
    .language:       OpenCL C
    .language_version:
      - 2
      - 0
    .max_flat_workgroup_size: 60
    .name:           _ZN9rocsparseL22gebsrmvn_mxn_16_kernelILj60ELj15ELj1E21rocsparse_complex_numIfEEEvi20rocsparse_direction_NS_24const_host_device_scalarIT2_EEPKiS8_PKS5_iiSA_S6_PS5_21rocsparse_index_base_b
    .private_segment_fixed_size: 0
    .sgpr_count:     18
    .sgpr_spill_count: 0
    .symbol:         _ZN9rocsparseL22gebsrmvn_mxn_16_kernelILj60ELj15ELj1E21rocsparse_complex_numIfEEEvi20rocsparse_direction_NS_24const_host_device_scalarIT2_EEPKiS8_PKS5_iiSA_S6_PS5_21rocsparse_index_base_b.kd
    .uniform_work_group_size: 1
    .uses_dynamic_stack: false
    .vgpr_count:     14
    .vgpr_spill_count: 0
    .wavefront_size: 32
  - .args:
      - .offset:         0
        .size:           4
        .value_kind:     by_value
      - .offset:         4
        .size:           4
        .value_kind:     by_value
      - .offset:         8
        .size:           8
        .value_kind:     by_value
      - .actual_access:  read_only
        .address_space:  global
        .offset:         16
        .size:           8
        .value_kind:     global_buffer
      - .actual_access:  read_only
        .address_space:  global
        .offset:         24
        .size:           8
        .value_kind:     global_buffer
      - .actual_access:  read_only
        .address_space:  global
        .offset:         32
        .size:           8
        .value_kind:     global_buffer
      - .offset:         40
        .size:           4
        .value_kind:     by_value
      - .offset:         44
        .size:           4
        .value_kind:     by_value
      - .actual_access:  read_only
        .address_space:  global
        .offset:         48
        .size:           8
        .value_kind:     global_buffer
      - .offset:         56
        .size:           8
        .value_kind:     by_value
      - .address_space:  global
        .offset:         64
        .size:           8
        .value_kind:     global_buffer
      - .offset:         72
        .size:           4
        .value_kind:     by_value
      - .offset:         76
        .size:           1
        .value_kind:     by_value
    .group_segment_fixed_size: 480
    .kernarg_segment_align: 8
    .kernarg_segment_size: 80
    .language:       OpenCL C
    .language_version:
      - 2
      - 0
    .max_flat_workgroup_size: 60
    .name:           _ZN9rocsparseL22gebsrmvn_mxn_16_kernelILj60ELj15ELj2E21rocsparse_complex_numIfEEEvi20rocsparse_direction_NS_24const_host_device_scalarIT2_EEPKiS8_PKS5_iiSA_S6_PS5_21rocsparse_index_base_b
    .private_segment_fixed_size: 0
    .sgpr_count:     18
    .sgpr_spill_count: 0
    .symbol:         _ZN9rocsparseL22gebsrmvn_mxn_16_kernelILj60ELj15ELj2E21rocsparse_complex_numIfEEEvi20rocsparse_direction_NS_24const_host_device_scalarIT2_EEPKiS8_PKS5_iiSA_S6_PS5_21rocsparse_index_base_b.kd
    .uniform_work_group_size: 1
    .uses_dynamic_stack: false
    .vgpr_count:     16
    .vgpr_spill_count: 0
    .wavefront_size: 32
  - .args:
      - .offset:         0
        .size:           4
        .value_kind:     by_value
      - .offset:         4
        .size:           4
        .value_kind:     by_value
      - .offset:         8
        .size:           8
        .value_kind:     by_value
      - .actual_access:  read_only
        .address_space:  global
        .offset:         16
        .size:           8
        .value_kind:     global_buffer
      - .actual_access:  read_only
        .address_space:  global
        .offset:         24
        .size:           8
        .value_kind:     global_buffer
      - .actual_access:  read_only
        .address_space:  global
        .offset:         32
        .size:           8
        .value_kind:     global_buffer
      - .offset:         40
        .size:           4
        .value_kind:     by_value
      - .offset:         44
        .size:           4
        .value_kind:     by_value
      - .actual_access:  read_only
        .address_space:  global
        .offset:         48
        .size:           8
        .value_kind:     global_buffer
      - .offset:         56
        .size:           8
        .value_kind:     by_value
      - .address_space:  global
        .offset:         64
        .size:           8
        .value_kind:     global_buffer
      - .offset:         72
        .size:           4
        .value_kind:     by_value
      - .offset:         76
        .size:           1
        .value_kind:     by_value
    .group_segment_fixed_size: 360
    .kernarg_segment_align: 8
    .kernarg_segment_size: 80
    .language:       OpenCL C
    .language_version:
      - 2
      - 0
    .max_flat_workgroup_size: 45
    .name:           _ZN9rocsparseL22gebsrmvn_mxn_16_kernelILj45ELj15ELj3E21rocsparse_complex_numIfEEEvi20rocsparse_direction_NS_24const_host_device_scalarIT2_EEPKiS8_PKS5_iiSA_S6_PS5_21rocsparse_index_base_b
    .private_segment_fixed_size: 0
    .sgpr_count:     18
    .sgpr_spill_count: 0
    .symbol:         _ZN9rocsparseL22gebsrmvn_mxn_16_kernelILj45ELj15ELj3E21rocsparse_complex_numIfEEEvi20rocsparse_direction_NS_24const_host_device_scalarIT2_EEPKiS8_PKS5_iiSA_S6_PS5_21rocsparse_index_base_b.kd
    .uniform_work_group_size: 1
    .uses_dynamic_stack: false
    .vgpr_count:     16
    .vgpr_spill_count: 0
    .wavefront_size: 32
  - .args:
      - .offset:         0
        .size:           4
        .value_kind:     by_value
      - .offset:         4
        .size:           4
        .value_kind:     by_value
      - .offset:         8
        .size:           8
        .value_kind:     by_value
      - .actual_access:  read_only
        .address_space:  global
        .offset:         16
        .size:           8
        .value_kind:     global_buffer
      - .actual_access:  read_only
        .address_space:  global
        .offset:         24
        .size:           8
        .value_kind:     global_buffer
      - .actual_access:  read_only
        .address_space:  global
        .offset:         32
        .size:           8
        .value_kind:     global_buffer
      - .offset:         40
        .size:           4
        .value_kind:     by_value
      - .offset:         44
        .size:           4
        .value_kind:     by_value
      - .actual_access:  read_only
        .address_space:  global
        .offset:         48
        .size:           8
        .value_kind:     global_buffer
      - .offset:         56
        .size:           8
        .value_kind:     by_value
      - .address_space:  global
        .offset:         64
        .size:           8
        .value_kind:     global_buffer
      - .offset:         72
        .size:           4
        .value_kind:     by_value
      - .offset:         76
        .size:           1
        .value_kind:     by_value
    .group_segment_fixed_size: 480
    .kernarg_segment_align: 8
    .kernarg_segment_size: 80
    .language:       OpenCL C
    .language_version:
      - 2
      - 0
    .max_flat_workgroup_size: 60
    .name:           _ZN9rocsparseL22gebsrmvn_mxn_16_kernelILj60ELj15ELj4E21rocsparse_complex_numIfEEEvi20rocsparse_direction_NS_24const_host_device_scalarIT2_EEPKiS8_PKS5_iiSA_S6_PS5_21rocsparse_index_base_b
    .private_segment_fixed_size: 0
    .sgpr_count:     18
    .sgpr_spill_count: 0
    .symbol:         _ZN9rocsparseL22gebsrmvn_mxn_16_kernelILj60ELj15ELj4E21rocsparse_complex_numIfEEEvi20rocsparse_direction_NS_24const_host_device_scalarIT2_EEPKiS8_PKS5_iiSA_S6_PS5_21rocsparse_index_base_b.kd
    .uniform_work_group_size: 1
    .uses_dynamic_stack: false
    .vgpr_count:     16
    .vgpr_spill_count: 0
    .wavefront_size: 32
  - .args:
      - .offset:         0
        .size:           4
        .value_kind:     by_value
      - .offset:         4
        .size:           4
        .value_kind:     by_value
      - .offset:         8
        .size:           8
        .value_kind:     by_value
      - .actual_access:  read_only
        .address_space:  global
        .offset:         16
        .size:           8
        .value_kind:     global_buffer
      - .actual_access:  read_only
        .address_space:  global
        .offset:         24
        .size:           8
        .value_kind:     global_buffer
      - .actual_access:  read_only
        .address_space:  global
        .offset:         32
        .size:           8
        .value_kind:     global_buffer
      - .offset:         40
        .size:           4
        .value_kind:     by_value
      - .offset:         44
        .size:           4
        .value_kind:     by_value
      - .actual_access:  read_only
        .address_space:  global
        .offset:         48
        .size:           8
        .value_kind:     global_buffer
      - .offset:         56
        .size:           8
        .value_kind:     by_value
      - .address_space:  global
        .offset:         64
        .size:           8
        .value_kind:     global_buffer
      - .offset:         72
        .size:           4
        .value_kind:     by_value
      - .offset:         76
        .size:           1
        .value_kind:     by_value
    .group_segment_fixed_size: 600
    .kernarg_segment_align: 8
    .kernarg_segment_size: 80
    .language:       OpenCL C
    .language_version:
      - 2
      - 0
    .max_flat_workgroup_size: 75
    .name:           _ZN9rocsparseL22gebsrmvn_mxn_16_kernelILj75ELj15ELj5E21rocsparse_complex_numIfEEEvi20rocsparse_direction_NS_24const_host_device_scalarIT2_EEPKiS8_PKS5_iiSA_S6_PS5_21rocsparse_index_base_b
    .private_segment_fixed_size: 0
    .sgpr_count:     18
    .sgpr_spill_count: 0
    .symbol:         _ZN9rocsparseL22gebsrmvn_mxn_16_kernelILj75ELj15ELj5E21rocsparse_complex_numIfEEEvi20rocsparse_direction_NS_24const_host_device_scalarIT2_EEPKiS8_PKS5_iiSA_S6_PS5_21rocsparse_index_base_b.kd
    .uniform_work_group_size: 1
    .uses_dynamic_stack: false
    .vgpr_count:     16
    .vgpr_spill_count: 0
    .wavefront_size: 32
  - .args:
      - .offset:         0
        .size:           4
        .value_kind:     by_value
      - .offset:         4
        .size:           4
        .value_kind:     by_value
      - .offset:         8
        .size:           8
        .value_kind:     by_value
      - .actual_access:  read_only
        .address_space:  global
        .offset:         16
        .size:           8
        .value_kind:     global_buffer
      - .actual_access:  read_only
        .address_space:  global
        .offset:         24
        .size:           8
        .value_kind:     global_buffer
      - .actual_access:  read_only
        .address_space:  global
        .offset:         32
        .size:           8
        .value_kind:     global_buffer
      - .offset:         40
        .size:           4
        .value_kind:     by_value
      - .offset:         44
        .size:           4
        .value_kind:     by_value
      - .actual_access:  read_only
        .address_space:  global
        .offset:         48
        .size:           8
        .value_kind:     global_buffer
      - .offset:         56
        .size:           8
        .value_kind:     by_value
      - .address_space:  global
        .offset:         64
        .size:           8
        .value_kind:     global_buffer
      - .offset:         72
        .size:           4
        .value_kind:     by_value
      - .offset:         76
        .size:           1
        .value_kind:     by_value
    .group_segment_fixed_size: 720
    .kernarg_segment_align: 8
    .kernarg_segment_size: 80
    .language:       OpenCL C
    .language_version:
      - 2
      - 0
    .max_flat_workgroup_size: 90
    .name:           _ZN9rocsparseL22gebsrmvn_mxn_16_kernelILj90ELj15ELj6E21rocsparse_complex_numIfEEEvi20rocsparse_direction_NS_24const_host_device_scalarIT2_EEPKiS8_PKS5_iiSA_S6_PS5_21rocsparse_index_base_b
    .private_segment_fixed_size: 0
    .sgpr_count:     18
    .sgpr_spill_count: 0
    .symbol:         _ZN9rocsparseL22gebsrmvn_mxn_16_kernelILj90ELj15ELj6E21rocsparse_complex_numIfEEEvi20rocsparse_direction_NS_24const_host_device_scalarIT2_EEPKiS8_PKS5_iiSA_S6_PS5_21rocsparse_index_base_b.kd
    .uniform_work_group_size: 1
    .uses_dynamic_stack: false
    .vgpr_count:     16
    .vgpr_spill_count: 0
    .wavefront_size: 32
  - .args:
      - .offset:         0
        .size:           4
        .value_kind:     by_value
      - .offset:         4
        .size:           4
        .value_kind:     by_value
      - .offset:         8
        .size:           8
        .value_kind:     by_value
      - .actual_access:  read_only
        .address_space:  global
        .offset:         16
        .size:           8
        .value_kind:     global_buffer
      - .actual_access:  read_only
        .address_space:  global
        .offset:         24
        .size:           8
        .value_kind:     global_buffer
      - .actual_access:  read_only
        .address_space:  global
        .offset:         32
        .size:           8
        .value_kind:     global_buffer
      - .offset:         40
        .size:           4
        .value_kind:     by_value
      - .offset:         44
        .size:           4
        .value_kind:     by_value
      - .actual_access:  read_only
        .address_space:  global
        .offset:         48
        .size:           8
        .value_kind:     global_buffer
      - .offset:         56
        .size:           8
        .value_kind:     by_value
      - .address_space:  global
        .offset:         64
        .size:           8
        .value_kind:     global_buffer
      - .offset:         72
        .size:           4
        .value_kind:     by_value
      - .offset:         76
        .size:           1
        .value_kind:     by_value
    .group_segment_fixed_size: 840
    .kernarg_segment_align: 8
    .kernarg_segment_size: 80
    .language:       OpenCL C
    .language_version:
      - 2
      - 0
    .max_flat_workgroup_size: 105
    .name:           _ZN9rocsparseL22gebsrmvn_mxn_16_kernelILj105ELj15ELj7E21rocsparse_complex_numIfEEEvi20rocsparse_direction_NS_24const_host_device_scalarIT2_EEPKiS8_PKS5_iiSA_S6_PS5_21rocsparse_index_base_b
    .private_segment_fixed_size: 0
    .sgpr_count:     18
    .sgpr_spill_count: 0
    .symbol:         _ZN9rocsparseL22gebsrmvn_mxn_16_kernelILj105ELj15ELj7E21rocsparse_complex_numIfEEEvi20rocsparse_direction_NS_24const_host_device_scalarIT2_EEPKiS8_PKS5_iiSA_S6_PS5_21rocsparse_index_base_b.kd
    .uniform_work_group_size: 1
    .uses_dynamic_stack: false
    .vgpr_count:     16
    .vgpr_spill_count: 0
    .wavefront_size: 32
  - .args:
      - .offset:         0
        .size:           4
        .value_kind:     by_value
      - .offset:         4
        .size:           4
        .value_kind:     by_value
      - .offset:         8
        .size:           8
        .value_kind:     by_value
      - .actual_access:  read_only
        .address_space:  global
        .offset:         16
        .size:           8
        .value_kind:     global_buffer
      - .actual_access:  read_only
        .address_space:  global
        .offset:         24
        .size:           8
        .value_kind:     global_buffer
      - .actual_access:  read_only
        .address_space:  global
        .offset:         32
        .size:           8
        .value_kind:     global_buffer
      - .offset:         40
        .size:           4
        .value_kind:     by_value
      - .offset:         44
        .size:           4
        .value_kind:     by_value
      - .actual_access:  read_only
        .address_space:  global
        .offset:         48
        .size:           8
        .value_kind:     global_buffer
      - .offset:         56
        .size:           8
        .value_kind:     by_value
      - .address_space:  global
        .offset:         64
        .size:           8
        .value_kind:     global_buffer
      - .offset:         72
        .size:           4
        .value_kind:     by_value
      - .offset:         76
        .size:           1
        .value_kind:     by_value
    .group_segment_fixed_size: 960
    .kernarg_segment_align: 8
    .kernarg_segment_size: 80
    .language:       OpenCL C
    .language_version:
      - 2
      - 0
    .max_flat_workgroup_size: 120
    .name:           _ZN9rocsparseL22gebsrmvn_mxn_16_kernelILj120ELj15ELj8E21rocsparse_complex_numIfEEEvi20rocsparse_direction_NS_24const_host_device_scalarIT2_EEPKiS8_PKS5_iiSA_S6_PS5_21rocsparse_index_base_b
    .private_segment_fixed_size: 0
    .sgpr_count:     18
    .sgpr_spill_count: 0
    .symbol:         _ZN9rocsparseL22gebsrmvn_mxn_16_kernelILj120ELj15ELj8E21rocsparse_complex_numIfEEEvi20rocsparse_direction_NS_24const_host_device_scalarIT2_EEPKiS8_PKS5_iiSA_S6_PS5_21rocsparse_index_base_b.kd
    .uniform_work_group_size: 1
    .uses_dynamic_stack: false
    .vgpr_count:     16
    .vgpr_spill_count: 0
    .wavefront_size: 32
  - .args:
      - .offset:         0
        .size:           4
        .value_kind:     by_value
      - .offset:         4
        .size:           4
        .value_kind:     by_value
      - .offset:         8
        .size:           8
        .value_kind:     by_value
      - .actual_access:  read_only
        .address_space:  global
        .offset:         16
        .size:           8
        .value_kind:     global_buffer
      - .actual_access:  read_only
        .address_space:  global
        .offset:         24
        .size:           8
        .value_kind:     global_buffer
      - .actual_access:  read_only
        .address_space:  global
        .offset:         32
        .size:           8
        .value_kind:     global_buffer
      - .offset:         40
        .size:           4
        .value_kind:     by_value
      - .offset:         44
        .size:           4
        .value_kind:     by_value
      - .actual_access:  read_only
        .address_space:  global
        .offset:         48
        .size:           8
        .value_kind:     global_buffer
      - .offset:         56
        .size:           8
        .value_kind:     by_value
      - .address_space:  global
        .offset:         64
        .size:           8
        .value_kind:     global_buffer
      - .offset:         72
        .size:           4
        .value_kind:     by_value
      - .offset:         76
        .size:           1
        .value_kind:     by_value
    .group_segment_fixed_size: 512
    .kernarg_segment_align: 8
    .kernarg_segment_size: 80
    .language:       OpenCL C
    .language_version:
      - 2
      - 0
    .max_flat_workgroup_size: 64
    .name:           _ZN9rocsparseL22gebsrmvn_mxn_16_kernelILj64ELj16ELj1E21rocsparse_complex_numIfEEEvi20rocsparse_direction_NS_24const_host_device_scalarIT2_EEPKiS8_PKS5_iiSA_S6_PS5_21rocsparse_index_base_b
    .private_segment_fixed_size: 0
    .sgpr_count:     18
    .sgpr_spill_count: 0
    .symbol:         _ZN9rocsparseL22gebsrmvn_mxn_16_kernelILj64ELj16ELj1E21rocsparse_complex_numIfEEEvi20rocsparse_direction_NS_24const_host_device_scalarIT2_EEPKiS8_PKS5_iiSA_S6_PS5_21rocsparse_index_base_b.kd
    .uniform_work_group_size: 1
    .uses_dynamic_stack: false
    .vgpr_count:     14
    .vgpr_spill_count: 0
    .wavefront_size: 32
  - .args:
      - .offset:         0
        .size:           4
        .value_kind:     by_value
      - .offset:         4
        .size:           4
        .value_kind:     by_value
      - .offset:         8
        .size:           8
        .value_kind:     by_value
      - .actual_access:  read_only
        .address_space:  global
        .offset:         16
        .size:           8
        .value_kind:     global_buffer
      - .actual_access:  read_only
        .address_space:  global
        .offset:         24
        .size:           8
        .value_kind:     global_buffer
      - .actual_access:  read_only
        .address_space:  global
        .offset:         32
        .size:           8
        .value_kind:     global_buffer
      - .offset:         40
        .size:           4
        .value_kind:     by_value
      - .offset:         44
        .size:           4
        .value_kind:     by_value
      - .actual_access:  read_only
        .address_space:  global
        .offset:         48
        .size:           8
        .value_kind:     global_buffer
      - .offset:         56
        .size:           8
        .value_kind:     by_value
      - .address_space:  global
        .offset:         64
        .size:           8
        .value_kind:     global_buffer
      - .offset:         72
        .size:           4
        .value_kind:     by_value
      - .offset:         76
        .size:           1
        .value_kind:     by_value
    .group_segment_fixed_size: 512
    .kernarg_segment_align: 8
    .kernarg_segment_size: 80
    .language:       OpenCL C
    .language_version:
      - 2
      - 0
    .max_flat_workgroup_size: 64
    .name:           _ZN9rocsparseL22gebsrmvn_mxn_16_kernelILj64ELj16ELj2E21rocsparse_complex_numIfEEEvi20rocsparse_direction_NS_24const_host_device_scalarIT2_EEPKiS8_PKS5_iiSA_S6_PS5_21rocsparse_index_base_b
    .private_segment_fixed_size: 0
    .sgpr_count:     18
    .sgpr_spill_count: 0
    .symbol:         _ZN9rocsparseL22gebsrmvn_mxn_16_kernelILj64ELj16ELj2E21rocsparse_complex_numIfEEEvi20rocsparse_direction_NS_24const_host_device_scalarIT2_EEPKiS8_PKS5_iiSA_S6_PS5_21rocsparse_index_base_b.kd
    .uniform_work_group_size: 1
    .uses_dynamic_stack: false
    .vgpr_count:     16
    .vgpr_spill_count: 0
    .wavefront_size: 32
  - .args:
      - .offset:         0
        .size:           4
        .value_kind:     by_value
      - .offset:         4
        .size:           4
        .value_kind:     by_value
      - .offset:         8
        .size:           8
        .value_kind:     by_value
      - .actual_access:  read_only
        .address_space:  global
        .offset:         16
        .size:           8
        .value_kind:     global_buffer
      - .actual_access:  read_only
        .address_space:  global
        .offset:         24
        .size:           8
        .value_kind:     global_buffer
      - .actual_access:  read_only
        .address_space:  global
        .offset:         32
        .size:           8
        .value_kind:     global_buffer
      - .offset:         40
        .size:           4
        .value_kind:     by_value
      - .offset:         44
        .size:           4
        .value_kind:     by_value
      - .actual_access:  read_only
        .address_space:  global
        .offset:         48
        .size:           8
        .value_kind:     global_buffer
      - .offset:         56
        .size:           8
        .value_kind:     by_value
      - .address_space:  global
        .offset:         64
        .size:           8
        .value_kind:     global_buffer
      - .offset:         72
        .size:           4
        .value_kind:     by_value
      - .offset:         76
        .size:           1
        .value_kind:     by_value
    .group_segment_fixed_size: 384
    .kernarg_segment_align: 8
    .kernarg_segment_size: 80
    .language:       OpenCL C
    .language_version:
      - 2
      - 0
    .max_flat_workgroup_size: 48
    .name:           _ZN9rocsparseL22gebsrmvn_mxn_16_kernelILj48ELj16ELj3E21rocsparse_complex_numIfEEEvi20rocsparse_direction_NS_24const_host_device_scalarIT2_EEPKiS8_PKS5_iiSA_S6_PS5_21rocsparse_index_base_b
    .private_segment_fixed_size: 0
    .sgpr_count:     18
    .sgpr_spill_count: 0
    .symbol:         _ZN9rocsparseL22gebsrmvn_mxn_16_kernelILj48ELj16ELj3E21rocsparse_complex_numIfEEEvi20rocsparse_direction_NS_24const_host_device_scalarIT2_EEPKiS8_PKS5_iiSA_S6_PS5_21rocsparse_index_base_b.kd
    .uniform_work_group_size: 1
    .uses_dynamic_stack: false
    .vgpr_count:     16
    .vgpr_spill_count: 0
    .wavefront_size: 32
  - .args:
      - .offset:         0
        .size:           4
        .value_kind:     by_value
      - .offset:         4
        .size:           4
        .value_kind:     by_value
      - .offset:         8
        .size:           8
        .value_kind:     by_value
      - .actual_access:  read_only
        .address_space:  global
        .offset:         16
        .size:           8
        .value_kind:     global_buffer
      - .actual_access:  read_only
        .address_space:  global
        .offset:         24
        .size:           8
        .value_kind:     global_buffer
      - .actual_access:  read_only
        .address_space:  global
        .offset:         32
        .size:           8
        .value_kind:     global_buffer
      - .offset:         40
        .size:           4
        .value_kind:     by_value
      - .offset:         44
        .size:           4
        .value_kind:     by_value
      - .actual_access:  read_only
        .address_space:  global
        .offset:         48
        .size:           8
        .value_kind:     global_buffer
      - .offset:         56
        .size:           8
        .value_kind:     by_value
      - .address_space:  global
        .offset:         64
        .size:           8
        .value_kind:     global_buffer
      - .offset:         72
        .size:           4
        .value_kind:     by_value
      - .offset:         76
        .size:           1
        .value_kind:     by_value
    .group_segment_fixed_size: 512
    .kernarg_segment_align: 8
    .kernarg_segment_size: 80
    .language:       OpenCL C
    .language_version:
      - 2
      - 0
    .max_flat_workgroup_size: 64
    .name:           _ZN9rocsparseL22gebsrmvn_mxn_16_kernelILj64ELj16ELj4E21rocsparse_complex_numIfEEEvi20rocsparse_direction_NS_24const_host_device_scalarIT2_EEPKiS8_PKS5_iiSA_S6_PS5_21rocsparse_index_base_b
    .private_segment_fixed_size: 0
    .sgpr_count:     18
    .sgpr_spill_count: 0
    .symbol:         _ZN9rocsparseL22gebsrmvn_mxn_16_kernelILj64ELj16ELj4E21rocsparse_complex_numIfEEEvi20rocsparse_direction_NS_24const_host_device_scalarIT2_EEPKiS8_PKS5_iiSA_S6_PS5_21rocsparse_index_base_b.kd
    .uniform_work_group_size: 1
    .uses_dynamic_stack: false
    .vgpr_count:     15
    .vgpr_spill_count: 0
    .wavefront_size: 32
  - .args:
      - .offset:         0
        .size:           4
        .value_kind:     by_value
      - .offset:         4
        .size:           4
        .value_kind:     by_value
      - .offset:         8
        .size:           8
        .value_kind:     by_value
      - .actual_access:  read_only
        .address_space:  global
        .offset:         16
        .size:           8
        .value_kind:     global_buffer
      - .actual_access:  read_only
        .address_space:  global
        .offset:         24
        .size:           8
        .value_kind:     global_buffer
      - .actual_access:  read_only
        .address_space:  global
        .offset:         32
        .size:           8
        .value_kind:     global_buffer
      - .offset:         40
        .size:           4
        .value_kind:     by_value
      - .offset:         44
        .size:           4
        .value_kind:     by_value
      - .actual_access:  read_only
        .address_space:  global
        .offset:         48
        .size:           8
        .value_kind:     global_buffer
      - .offset:         56
        .size:           8
        .value_kind:     by_value
      - .address_space:  global
        .offset:         64
        .size:           8
        .value_kind:     global_buffer
      - .offset:         72
        .size:           4
        .value_kind:     by_value
      - .offset:         76
        .size:           1
        .value_kind:     by_value
    .group_segment_fixed_size: 640
    .kernarg_segment_align: 8
    .kernarg_segment_size: 80
    .language:       OpenCL C
    .language_version:
      - 2
      - 0
    .max_flat_workgroup_size: 80
    .name:           _ZN9rocsparseL22gebsrmvn_mxn_16_kernelILj80ELj16ELj5E21rocsparse_complex_numIfEEEvi20rocsparse_direction_NS_24const_host_device_scalarIT2_EEPKiS8_PKS5_iiSA_S6_PS5_21rocsparse_index_base_b
    .private_segment_fixed_size: 0
    .sgpr_count:     18
    .sgpr_spill_count: 0
    .symbol:         _ZN9rocsparseL22gebsrmvn_mxn_16_kernelILj80ELj16ELj5E21rocsparse_complex_numIfEEEvi20rocsparse_direction_NS_24const_host_device_scalarIT2_EEPKiS8_PKS5_iiSA_S6_PS5_21rocsparse_index_base_b.kd
    .uniform_work_group_size: 1
    .uses_dynamic_stack: false
    .vgpr_count:     16
    .vgpr_spill_count: 0
    .wavefront_size: 32
  - .args:
      - .offset:         0
        .size:           4
        .value_kind:     by_value
      - .offset:         4
        .size:           4
        .value_kind:     by_value
      - .offset:         8
        .size:           8
        .value_kind:     by_value
      - .actual_access:  read_only
        .address_space:  global
        .offset:         16
        .size:           8
        .value_kind:     global_buffer
      - .actual_access:  read_only
        .address_space:  global
        .offset:         24
        .size:           8
        .value_kind:     global_buffer
      - .actual_access:  read_only
        .address_space:  global
        .offset:         32
        .size:           8
        .value_kind:     global_buffer
      - .offset:         40
        .size:           4
        .value_kind:     by_value
      - .offset:         44
        .size:           4
        .value_kind:     by_value
      - .actual_access:  read_only
        .address_space:  global
        .offset:         48
        .size:           8
        .value_kind:     global_buffer
      - .offset:         56
        .size:           8
        .value_kind:     by_value
      - .address_space:  global
        .offset:         64
        .size:           8
        .value_kind:     global_buffer
      - .offset:         72
        .size:           4
        .value_kind:     by_value
      - .offset:         76
        .size:           1
        .value_kind:     by_value
    .group_segment_fixed_size: 768
    .kernarg_segment_align: 8
    .kernarg_segment_size: 80
    .language:       OpenCL C
    .language_version:
      - 2
      - 0
    .max_flat_workgroup_size: 96
    .name:           _ZN9rocsparseL22gebsrmvn_mxn_16_kernelILj96ELj16ELj6E21rocsparse_complex_numIfEEEvi20rocsparse_direction_NS_24const_host_device_scalarIT2_EEPKiS8_PKS5_iiSA_S6_PS5_21rocsparse_index_base_b
    .private_segment_fixed_size: 0
    .sgpr_count:     18
    .sgpr_spill_count: 0
    .symbol:         _ZN9rocsparseL22gebsrmvn_mxn_16_kernelILj96ELj16ELj6E21rocsparse_complex_numIfEEEvi20rocsparse_direction_NS_24const_host_device_scalarIT2_EEPKiS8_PKS5_iiSA_S6_PS5_21rocsparse_index_base_b.kd
    .uniform_work_group_size: 1
    .uses_dynamic_stack: false
    .vgpr_count:     16
    .vgpr_spill_count: 0
    .wavefront_size: 32
  - .args:
      - .offset:         0
        .size:           4
        .value_kind:     by_value
      - .offset:         4
        .size:           4
        .value_kind:     by_value
      - .offset:         8
        .size:           8
        .value_kind:     by_value
      - .actual_access:  read_only
        .address_space:  global
        .offset:         16
        .size:           8
        .value_kind:     global_buffer
      - .actual_access:  read_only
        .address_space:  global
        .offset:         24
        .size:           8
        .value_kind:     global_buffer
      - .actual_access:  read_only
        .address_space:  global
        .offset:         32
        .size:           8
        .value_kind:     global_buffer
      - .offset:         40
        .size:           4
        .value_kind:     by_value
      - .offset:         44
        .size:           4
        .value_kind:     by_value
      - .actual_access:  read_only
        .address_space:  global
        .offset:         48
        .size:           8
        .value_kind:     global_buffer
      - .offset:         56
        .size:           8
        .value_kind:     by_value
      - .address_space:  global
        .offset:         64
        .size:           8
        .value_kind:     global_buffer
      - .offset:         72
        .size:           4
        .value_kind:     by_value
      - .offset:         76
        .size:           1
        .value_kind:     by_value
    .group_segment_fixed_size: 896
    .kernarg_segment_align: 8
    .kernarg_segment_size: 80
    .language:       OpenCL C
    .language_version:
      - 2
      - 0
    .max_flat_workgroup_size: 112
    .name:           _ZN9rocsparseL22gebsrmvn_mxn_16_kernelILj112ELj16ELj7E21rocsparse_complex_numIfEEEvi20rocsparse_direction_NS_24const_host_device_scalarIT2_EEPKiS8_PKS5_iiSA_S6_PS5_21rocsparse_index_base_b
    .private_segment_fixed_size: 0
    .sgpr_count:     18
    .sgpr_spill_count: 0
    .symbol:         _ZN9rocsparseL22gebsrmvn_mxn_16_kernelILj112ELj16ELj7E21rocsparse_complex_numIfEEEvi20rocsparse_direction_NS_24const_host_device_scalarIT2_EEPKiS8_PKS5_iiSA_S6_PS5_21rocsparse_index_base_b.kd
    .uniform_work_group_size: 1
    .uses_dynamic_stack: false
    .vgpr_count:     16
    .vgpr_spill_count: 0
    .wavefront_size: 32
  - .args:
      - .offset:         0
        .size:           4
        .value_kind:     by_value
      - .offset:         4
        .size:           4
        .value_kind:     by_value
      - .offset:         8
        .size:           8
        .value_kind:     by_value
      - .actual_access:  read_only
        .address_space:  global
        .offset:         16
        .size:           8
        .value_kind:     global_buffer
      - .actual_access:  read_only
        .address_space:  global
        .offset:         24
        .size:           8
        .value_kind:     global_buffer
      - .actual_access:  read_only
        .address_space:  global
        .offset:         32
        .size:           8
        .value_kind:     global_buffer
      - .offset:         40
        .size:           4
        .value_kind:     by_value
      - .offset:         44
        .size:           4
        .value_kind:     by_value
      - .actual_access:  read_only
        .address_space:  global
        .offset:         48
        .size:           8
        .value_kind:     global_buffer
      - .offset:         56
        .size:           8
        .value_kind:     by_value
      - .address_space:  global
        .offset:         64
        .size:           8
        .value_kind:     global_buffer
      - .offset:         72
        .size:           4
        .value_kind:     by_value
      - .offset:         76
        .size:           1
        .value_kind:     by_value
    .group_segment_fixed_size: 1024
    .kernarg_segment_align: 8
    .kernarg_segment_size: 80
    .language:       OpenCL C
    .language_version:
      - 2
      - 0
    .max_flat_workgroup_size: 128
    .name:           _ZN9rocsparseL22gebsrmvn_mxn_16_kernelILj128ELj16ELj8E21rocsparse_complex_numIfEEEvi20rocsparse_direction_NS_24const_host_device_scalarIT2_EEPKiS8_PKS5_iiSA_S6_PS5_21rocsparse_index_base_b
    .private_segment_fixed_size: 0
    .sgpr_count:     18
    .sgpr_spill_count: 0
    .symbol:         _ZN9rocsparseL22gebsrmvn_mxn_16_kernelILj128ELj16ELj8E21rocsparse_complex_numIfEEEvi20rocsparse_direction_NS_24const_host_device_scalarIT2_EEPKiS8_PKS5_iiSA_S6_PS5_21rocsparse_index_base_b.kd
    .uniform_work_group_size: 1
    .uses_dynamic_stack: false
    .vgpr_count:     15
    .vgpr_spill_count: 0
    .wavefront_size: 32
  - .args:
      - .offset:         0
        .size:           4
        .value_kind:     by_value
      - .offset:         4
        .size:           4
        .value_kind:     by_value
      - .offset:         8
        .size:           16
        .value_kind:     by_value
      - .actual_access:  read_only
        .address_space:  global
        .offset:         24
        .size:           8
        .value_kind:     global_buffer
      - .actual_access:  read_only
        .address_space:  global
        .offset:         32
        .size:           8
        .value_kind:     global_buffer
      - .actual_access:  read_only
        .address_space:  global
        .offset:         40
        .size:           8
        .value_kind:     global_buffer
      - .offset:         48
        .size:           4
        .value_kind:     by_value
      - .offset:         52
        .size:           4
        .value_kind:     by_value
      - .actual_access:  read_only
        .address_space:  global
        .offset:         56
        .size:           8
        .value_kind:     global_buffer
      - .offset:         64
        .size:           16
        .value_kind:     by_value
      - .address_space:  global
        .offset:         80
        .size:           8
        .value_kind:     global_buffer
      - .offset:         88
        .size:           4
        .value_kind:     by_value
      - .offset:         92
        .size:           1
        .value_kind:     by_value
    .group_segment_fixed_size: 832
    .kernarg_segment_align: 8
    .kernarg_segment_size: 96
    .language:       OpenCL C
    .language_version:
      - 2
      - 0
    .max_flat_workgroup_size: 52
    .name:           _ZN9rocsparseL22gebsrmvn_mxn_16_kernelILj52ELj13ELj1E21rocsparse_complex_numIdEEEvi20rocsparse_direction_NS_24const_host_device_scalarIT2_EEPKiS8_PKS5_iiSA_S6_PS5_21rocsparse_index_base_b
    .private_segment_fixed_size: 0
    .sgpr_count:     18
    .sgpr_spill_count: 0
    .symbol:         _ZN9rocsparseL22gebsrmvn_mxn_16_kernelILj52ELj13ELj1E21rocsparse_complex_numIdEEEvi20rocsparse_direction_NS_24const_host_device_scalarIT2_EEPKiS8_PKS5_iiSA_S6_PS5_21rocsparse_index_base_b.kd
    .uniform_work_group_size: 1
    .uses_dynamic_stack: false
    .vgpr_count:     24
    .vgpr_spill_count: 0
    .wavefront_size: 32
  - .args:
      - .offset:         0
        .size:           4
        .value_kind:     by_value
      - .offset:         4
        .size:           4
        .value_kind:     by_value
      - .offset:         8
        .size:           16
        .value_kind:     by_value
      - .actual_access:  read_only
        .address_space:  global
        .offset:         24
        .size:           8
        .value_kind:     global_buffer
      - .actual_access:  read_only
        .address_space:  global
        .offset:         32
        .size:           8
        .value_kind:     global_buffer
      - .actual_access:  read_only
        .address_space:  global
        .offset:         40
        .size:           8
        .value_kind:     global_buffer
      - .offset:         48
        .size:           4
        .value_kind:     by_value
      - .offset:         52
        .size:           4
        .value_kind:     by_value
      - .actual_access:  read_only
        .address_space:  global
        .offset:         56
        .size:           8
        .value_kind:     global_buffer
      - .offset:         64
        .size:           16
        .value_kind:     by_value
      - .address_space:  global
        .offset:         80
        .size:           8
        .value_kind:     global_buffer
      - .offset:         88
        .size:           4
        .value_kind:     by_value
      - .offset:         92
        .size:           1
        .value_kind:     by_value
    .group_segment_fixed_size: 832
    .kernarg_segment_align: 8
    .kernarg_segment_size: 96
    .language:       OpenCL C
    .language_version:
      - 2
      - 0
    .max_flat_workgroup_size: 52
    .name:           _ZN9rocsparseL22gebsrmvn_mxn_16_kernelILj52ELj13ELj2E21rocsparse_complex_numIdEEEvi20rocsparse_direction_NS_24const_host_device_scalarIT2_EEPKiS8_PKS5_iiSA_S6_PS5_21rocsparse_index_base_b
    .private_segment_fixed_size: 0
    .sgpr_count:     18
    .sgpr_spill_count: 0
    .symbol:         _ZN9rocsparseL22gebsrmvn_mxn_16_kernelILj52ELj13ELj2E21rocsparse_complex_numIdEEEvi20rocsparse_direction_NS_24const_host_device_scalarIT2_EEPKiS8_PKS5_iiSA_S6_PS5_21rocsparse_index_base_b.kd
    .uniform_work_group_size: 1
    .uses_dynamic_stack: false
    .vgpr_count:     26
    .vgpr_spill_count: 0
    .wavefront_size: 32
  - .args:
      - .offset:         0
        .size:           4
        .value_kind:     by_value
      - .offset:         4
        .size:           4
        .value_kind:     by_value
      - .offset:         8
        .size:           16
        .value_kind:     by_value
      - .actual_access:  read_only
        .address_space:  global
        .offset:         24
        .size:           8
        .value_kind:     global_buffer
      - .actual_access:  read_only
        .address_space:  global
        .offset:         32
        .size:           8
        .value_kind:     global_buffer
      - .actual_access:  read_only
        .address_space:  global
        .offset:         40
        .size:           8
        .value_kind:     global_buffer
      - .offset:         48
        .size:           4
        .value_kind:     by_value
      - .offset:         52
        .size:           4
        .value_kind:     by_value
      - .actual_access:  read_only
        .address_space:  global
        .offset:         56
        .size:           8
        .value_kind:     global_buffer
      - .offset:         64
        .size:           16
        .value_kind:     by_value
      - .address_space:  global
        .offset:         80
        .size:           8
        .value_kind:     global_buffer
      - .offset:         88
        .size:           4
        .value_kind:     by_value
      - .offset:         92
        .size:           1
        .value_kind:     by_value
    .group_segment_fixed_size: 624
    .kernarg_segment_align: 8
    .kernarg_segment_size: 96
    .language:       OpenCL C
    .language_version:
      - 2
      - 0
    .max_flat_workgroup_size: 39
    .name:           _ZN9rocsparseL22gebsrmvn_mxn_16_kernelILj39ELj13ELj3E21rocsparse_complex_numIdEEEvi20rocsparse_direction_NS_24const_host_device_scalarIT2_EEPKiS8_PKS5_iiSA_S6_PS5_21rocsparse_index_base_b
    .private_segment_fixed_size: 0
    .sgpr_count:     18
    .sgpr_spill_count: 0
    .symbol:         _ZN9rocsparseL22gebsrmvn_mxn_16_kernelILj39ELj13ELj3E21rocsparse_complex_numIdEEEvi20rocsparse_direction_NS_24const_host_device_scalarIT2_EEPKiS8_PKS5_iiSA_S6_PS5_21rocsparse_index_base_b.kd
    .uniform_work_group_size: 1
    .uses_dynamic_stack: false
    .vgpr_count:     26
    .vgpr_spill_count: 0
    .wavefront_size: 32
  - .args:
      - .offset:         0
        .size:           4
        .value_kind:     by_value
      - .offset:         4
        .size:           4
        .value_kind:     by_value
      - .offset:         8
        .size:           16
        .value_kind:     by_value
      - .actual_access:  read_only
        .address_space:  global
        .offset:         24
        .size:           8
        .value_kind:     global_buffer
      - .actual_access:  read_only
        .address_space:  global
        .offset:         32
        .size:           8
        .value_kind:     global_buffer
      - .actual_access:  read_only
        .address_space:  global
        .offset:         40
        .size:           8
        .value_kind:     global_buffer
      - .offset:         48
        .size:           4
        .value_kind:     by_value
      - .offset:         52
        .size:           4
        .value_kind:     by_value
      - .actual_access:  read_only
        .address_space:  global
        .offset:         56
        .size:           8
        .value_kind:     global_buffer
      - .offset:         64
        .size:           16
        .value_kind:     by_value
      - .address_space:  global
        .offset:         80
        .size:           8
        .value_kind:     global_buffer
      - .offset:         88
        .size:           4
        .value_kind:     by_value
      - .offset:         92
        .size:           1
        .value_kind:     by_value
    .group_segment_fixed_size: 832
    .kernarg_segment_align: 8
    .kernarg_segment_size: 96
    .language:       OpenCL C
    .language_version:
      - 2
      - 0
    .max_flat_workgroup_size: 52
    .name:           _ZN9rocsparseL22gebsrmvn_mxn_16_kernelILj52ELj13ELj4E21rocsparse_complex_numIdEEEvi20rocsparse_direction_NS_24const_host_device_scalarIT2_EEPKiS8_PKS5_iiSA_S6_PS5_21rocsparse_index_base_b
    .private_segment_fixed_size: 0
    .sgpr_count:     18
    .sgpr_spill_count: 0
    .symbol:         _ZN9rocsparseL22gebsrmvn_mxn_16_kernelILj52ELj13ELj4E21rocsparse_complex_numIdEEEvi20rocsparse_direction_NS_24const_host_device_scalarIT2_EEPKiS8_PKS5_iiSA_S6_PS5_21rocsparse_index_base_b.kd
    .uniform_work_group_size: 1
    .uses_dynamic_stack: false
    .vgpr_count:     26
    .vgpr_spill_count: 0
    .wavefront_size: 32
  - .args:
      - .offset:         0
        .size:           4
        .value_kind:     by_value
      - .offset:         4
        .size:           4
        .value_kind:     by_value
      - .offset:         8
        .size:           16
        .value_kind:     by_value
      - .actual_access:  read_only
        .address_space:  global
        .offset:         24
        .size:           8
        .value_kind:     global_buffer
      - .actual_access:  read_only
        .address_space:  global
        .offset:         32
        .size:           8
        .value_kind:     global_buffer
      - .actual_access:  read_only
        .address_space:  global
        .offset:         40
        .size:           8
        .value_kind:     global_buffer
      - .offset:         48
        .size:           4
        .value_kind:     by_value
      - .offset:         52
        .size:           4
        .value_kind:     by_value
      - .actual_access:  read_only
        .address_space:  global
        .offset:         56
        .size:           8
        .value_kind:     global_buffer
      - .offset:         64
        .size:           16
        .value_kind:     by_value
      - .address_space:  global
        .offset:         80
        .size:           8
        .value_kind:     global_buffer
      - .offset:         88
        .size:           4
        .value_kind:     by_value
      - .offset:         92
        .size:           1
        .value_kind:     by_value
    .group_segment_fixed_size: 1040
    .kernarg_segment_align: 8
    .kernarg_segment_size: 96
    .language:       OpenCL C
    .language_version:
      - 2
      - 0
    .max_flat_workgroup_size: 65
    .name:           _ZN9rocsparseL22gebsrmvn_mxn_16_kernelILj65ELj13ELj5E21rocsparse_complex_numIdEEEvi20rocsparse_direction_NS_24const_host_device_scalarIT2_EEPKiS8_PKS5_iiSA_S6_PS5_21rocsparse_index_base_b
    .private_segment_fixed_size: 0
    .sgpr_count:     18
    .sgpr_spill_count: 0
    .symbol:         _ZN9rocsparseL22gebsrmvn_mxn_16_kernelILj65ELj13ELj5E21rocsparse_complex_numIdEEEvi20rocsparse_direction_NS_24const_host_device_scalarIT2_EEPKiS8_PKS5_iiSA_S6_PS5_21rocsparse_index_base_b.kd
    .uniform_work_group_size: 1
    .uses_dynamic_stack: false
    .vgpr_count:     26
    .vgpr_spill_count: 0
    .wavefront_size: 32
  - .args:
      - .offset:         0
        .size:           4
        .value_kind:     by_value
      - .offset:         4
        .size:           4
        .value_kind:     by_value
      - .offset:         8
        .size:           16
        .value_kind:     by_value
      - .actual_access:  read_only
        .address_space:  global
        .offset:         24
        .size:           8
        .value_kind:     global_buffer
      - .actual_access:  read_only
        .address_space:  global
        .offset:         32
        .size:           8
        .value_kind:     global_buffer
      - .actual_access:  read_only
        .address_space:  global
        .offset:         40
        .size:           8
        .value_kind:     global_buffer
      - .offset:         48
        .size:           4
        .value_kind:     by_value
      - .offset:         52
        .size:           4
        .value_kind:     by_value
      - .actual_access:  read_only
        .address_space:  global
        .offset:         56
        .size:           8
        .value_kind:     global_buffer
      - .offset:         64
        .size:           16
        .value_kind:     by_value
      - .address_space:  global
        .offset:         80
        .size:           8
        .value_kind:     global_buffer
      - .offset:         88
        .size:           4
        .value_kind:     by_value
      - .offset:         92
        .size:           1
        .value_kind:     by_value
    .group_segment_fixed_size: 1248
    .kernarg_segment_align: 8
    .kernarg_segment_size: 96
    .language:       OpenCL C
    .language_version:
      - 2
      - 0
    .max_flat_workgroup_size: 78
    .name:           _ZN9rocsparseL22gebsrmvn_mxn_16_kernelILj78ELj13ELj6E21rocsparse_complex_numIdEEEvi20rocsparse_direction_NS_24const_host_device_scalarIT2_EEPKiS8_PKS5_iiSA_S6_PS5_21rocsparse_index_base_b
    .private_segment_fixed_size: 0
    .sgpr_count:     18
    .sgpr_spill_count: 0
    .symbol:         _ZN9rocsparseL22gebsrmvn_mxn_16_kernelILj78ELj13ELj6E21rocsparse_complex_numIdEEEvi20rocsparse_direction_NS_24const_host_device_scalarIT2_EEPKiS8_PKS5_iiSA_S6_PS5_21rocsparse_index_base_b.kd
    .uniform_work_group_size: 1
    .uses_dynamic_stack: false
    .vgpr_count:     26
    .vgpr_spill_count: 0
    .wavefront_size: 32
  - .args:
      - .offset:         0
        .size:           4
        .value_kind:     by_value
      - .offset:         4
        .size:           4
        .value_kind:     by_value
      - .offset:         8
        .size:           16
        .value_kind:     by_value
      - .actual_access:  read_only
        .address_space:  global
        .offset:         24
        .size:           8
        .value_kind:     global_buffer
      - .actual_access:  read_only
        .address_space:  global
        .offset:         32
        .size:           8
        .value_kind:     global_buffer
      - .actual_access:  read_only
        .address_space:  global
        .offset:         40
        .size:           8
        .value_kind:     global_buffer
      - .offset:         48
        .size:           4
        .value_kind:     by_value
      - .offset:         52
        .size:           4
        .value_kind:     by_value
      - .actual_access:  read_only
        .address_space:  global
        .offset:         56
        .size:           8
        .value_kind:     global_buffer
      - .offset:         64
        .size:           16
        .value_kind:     by_value
      - .address_space:  global
        .offset:         80
        .size:           8
        .value_kind:     global_buffer
      - .offset:         88
        .size:           4
        .value_kind:     by_value
      - .offset:         92
        .size:           1
        .value_kind:     by_value
    .group_segment_fixed_size: 1456
    .kernarg_segment_align: 8
    .kernarg_segment_size: 96
    .language:       OpenCL C
    .language_version:
      - 2
      - 0
    .max_flat_workgroup_size: 91
    .name:           _ZN9rocsparseL22gebsrmvn_mxn_16_kernelILj91ELj13ELj7E21rocsparse_complex_numIdEEEvi20rocsparse_direction_NS_24const_host_device_scalarIT2_EEPKiS8_PKS5_iiSA_S6_PS5_21rocsparse_index_base_b
    .private_segment_fixed_size: 0
    .sgpr_count:     18
    .sgpr_spill_count: 0
    .symbol:         _ZN9rocsparseL22gebsrmvn_mxn_16_kernelILj91ELj13ELj7E21rocsparse_complex_numIdEEEvi20rocsparse_direction_NS_24const_host_device_scalarIT2_EEPKiS8_PKS5_iiSA_S6_PS5_21rocsparse_index_base_b.kd
    .uniform_work_group_size: 1
    .uses_dynamic_stack: false
    .vgpr_count:     26
    .vgpr_spill_count: 0
    .wavefront_size: 32
  - .args:
      - .offset:         0
        .size:           4
        .value_kind:     by_value
      - .offset:         4
        .size:           4
        .value_kind:     by_value
      - .offset:         8
        .size:           16
        .value_kind:     by_value
      - .actual_access:  read_only
        .address_space:  global
        .offset:         24
        .size:           8
        .value_kind:     global_buffer
      - .actual_access:  read_only
        .address_space:  global
        .offset:         32
        .size:           8
        .value_kind:     global_buffer
      - .actual_access:  read_only
        .address_space:  global
        .offset:         40
        .size:           8
        .value_kind:     global_buffer
      - .offset:         48
        .size:           4
        .value_kind:     by_value
      - .offset:         52
        .size:           4
        .value_kind:     by_value
      - .actual_access:  read_only
        .address_space:  global
        .offset:         56
        .size:           8
        .value_kind:     global_buffer
      - .offset:         64
        .size:           16
        .value_kind:     by_value
      - .address_space:  global
        .offset:         80
        .size:           8
        .value_kind:     global_buffer
      - .offset:         88
        .size:           4
        .value_kind:     by_value
      - .offset:         92
        .size:           1
        .value_kind:     by_value
    .group_segment_fixed_size: 1664
    .kernarg_segment_align: 8
    .kernarg_segment_size: 96
    .language:       OpenCL C
    .language_version:
      - 2
      - 0
    .max_flat_workgroup_size: 104
    .name:           _ZN9rocsparseL22gebsrmvn_mxn_16_kernelILj104ELj13ELj8E21rocsparse_complex_numIdEEEvi20rocsparse_direction_NS_24const_host_device_scalarIT2_EEPKiS8_PKS5_iiSA_S6_PS5_21rocsparse_index_base_b
    .private_segment_fixed_size: 0
    .sgpr_count:     18
    .sgpr_spill_count: 0
    .symbol:         _ZN9rocsparseL22gebsrmvn_mxn_16_kernelILj104ELj13ELj8E21rocsparse_complex_numIdEEEvi20rocsparse_direction_NS_24const_host_device_scalarIT2_EEPKiS8_PKS5_iiSA_S6_PS5_21rocsparse_index_base_b.kd
    .uniform_work_group_size: 1
    .uses_dynamic_stack: false
    .vgpr_count:     26
    .vgpr_spill_count: 0
    .wavefront_size: 32
  - .args:
      - .offset:         0
        .size:           4
        .value_kind:     by_value
      - .offset:         4
        .size:           4
        .value_kind:     by_value
      - .offset:         8
        .size:           16
        .value_kind:     by_value
      - .actual_access:  read_only
        .address_space:  global
        .offset:         24
        .size:           8
        .value_kind:     global_buffer
      - .actual_access:  read_only
        .address_space:  global
        .offset:         32
        .size:           8
        .value_kind:     global_buffer
      - .actual_access:  read_only
        .address_space:  global
        .offset:         40
        .size:           8
        .value_kind:     global_buffer
      - .offset:         48
        .size:           4
        .value_kind:     by_value
      - .offset:         52
        .size:           4
        .value_kind:     by_value
      - .actual_access:  read_only
        .address_space:  global
        .offset:         56
        .size:           8
        .value_kind:     global_buffer
      - .offset:         64
        .size:           16
        .value_kind:     by_value
      - .address_space:  global
        .offset:         80
        .size:           8
        .value_kind:     global_buffer
      - .offset:         88
        .size:           4
        .value_kind:     by_value
      - .offset:         92
        .size:           1
        .value_kind:     by_value
    .group_segment_fixed_size: 0
    .kernarg_segment_align: 8
    .kernarg_segment_size: 96
    .language:       OpenCL C
    .language_version:
      - 2
      - 0
    .max_flat_workgroup_size: 256
    .name:           _ZN9rocsparseL23gebsrmvn_general_kernelILj256ELj16E21rocsparse_complex_numIdEEEvi20rocsparse_direction_NS_24const_host_device_scalarIT1_EEPKiS8_PKS5_iiSA_S6_PS5_21rocsparse_index_base_b
    .private_segment_fixed_size: 0
    .sgpr_count:     30
    .sgpr_spill_count: 0
    .symbol:         _ZN9rocsparseL23gebsrmvn_general_kernelILj256ELj16E21rocsparse_complex_numIdEEEvi20rocsparse_direction_NS_24const_host_device_scalarIT1_EEPKiS8_PKS5_iiSA_S6_PS5_21rocsparse_index_base_b.kd
    .uniform_work_group_size: 1
    .uses_dynamic_stack: false
    .vgpr_count:     32
    .vgpr_spill_count: 0
    .wavefront_size: 32
  - .args:
      - .offset:         0
        .size:           4
        .value_kind:     by_value
      - .offset:         4
        .size:           4
        .value_kind:     by_value
      - .offset:         8
        .size:           16
        .value_kind:     by_value
      - .actual_access:  read_only
        .address_space:  global
        .offset:         24
        .size:           8
        .value_kind:     global_buffer
      - .actual_access:  read_only
        .address_space:  global
        .offset:         32
        .size:           8
        .value_kind:     global_buffer
      - .actual_access:  read_only
        .address_space:  global
        .offset:         40
        .size:           8
        .value_kind:     global_buffer
      - .offset:         48
        .size:           4
        .value_kind:     by_value
      - .offset:         52
        .size:           4
        .value_kind:     by_value
      - .actual_access:  read_only
        .address_space:  global
        .offset:         56
        .size:           8
        .value_kind:     global_buffer
      - .offset:         64
        .size:           16
        .value_kind:     by_value
      - .address_space:  global
        .offset:         80
        .size:           8
        .value_kind:     global_buffer
      - .offset:         88
        .size:           4
        .value_kind:     by_value
      - .offset:         92
        .size:           1
        .value_kind:     by_value
    .group_segment_fixed_size: 0
    .kernarg_segment_align: 8
    .kernarg_segment_size: 96
    .language:       OpenCL C
    .language_version:
      - 2
      - 0
    .max_flat_workgroup_size: 512
    .name:           _ZN9rocsparseL23gebsrmvn_general_kernelILj512ELj32E21rocsparse_complex_numIdEEEvi20rocsparse_direction_NS_24const_host_device_scalarIT1_EEPKiS8_PKS5_iiSA_S6_PS5_21rocsparse_index_base_b
    .private_segment_fixed_size: 0
    .sgpr_count:     30
    .sgpr_spill_count: 0
    .symbol:         _ZN9rocsparseL23gebsrmvn_general_kernelILj512ELj32E21rocsparse_complex_numIdEEEvi20rocsparse_direction_NS_24const_host_device_scalarIT1_EEPKiS8_PKS5_iiSA_S6_PS5_21rocsparse_index_base_b.kd
    .uniform_work_group_size: 1
    .uses_dynamic_stack: false
    .vgpr_count:     32
    .vgpr_spill_count: 0
    .wavefront_size: 32
  - .args:
      - .offset:         0
        .size:           4
        .value_kind:     by_value
      - .offset:         4
        .size:           4
        .value_kind:     by_value
      - .offset:         8
        .size:           16
        .value_kind:     by_value
      - .actual_access:  read_only
        .address_space:  global
        .offset:         24
        .size:           8
        .value_kind:     global_buffer
      - .actual_access:  read_only
        .address_space:  global
        .offset:         32
        .size:           8
        .value_kind:     global_buffer
      - .actual_access:  read_only
        .address_space:  global
        .offset:         40
        .size:           8
        .value_kind:     global_buffer
      - .offset:         48
        .size:           4
        .value_kind:     by_value
      - .offset:         52
        .size:           4
        .value_kind:     by_value
      - .actual_access:  read_only
        .address_space:  global
        .offset:         56
        .size:           8
        .value_kind:     global_buffer
      - .offset:         64
        .size:           16
        .value_kind:     by_value
      - .address_space:  global
        .offset:         80
        .size:           8
        .value_kind:     global_buffer
      - .offset:         88
        .size:           4
        .value_kind:     by_value
      - .offset:         92
        .size:           1
        .value_kind:     by_value
    .group_segment_fixed_size: 896
    .kernarg_segment_align: 8
    .kernarg_segment_size: 96
    .language:       OpenCL C
    .language_version:
      - 2
      - 0
    .max_flat_workgroup_size: 56
    .name:           _ZN9rocsparseL22gebsrmvn_mxn_16_kernelILj56ELj14ELj1E21rocsparse_complex_numIdEEEvi20rocsparse_direction_NS_24const_host_device_scalarIT2_EEPKiS8_PKS5_iiSA_S6_PS5_21rocsparse_index_base_b
    .private_segment_fixed_size: 0
    .sgpr_count:     18
    .sgpr_spill_count: 0
    .symbol:         _ZN9rocsparseL22gebsrmvn_mxn_16_kernelILj56ELj14ELj1E21rocsparse_complex_numIdEEEvi20rocsparse_direction_NS_24const_host_device_scalarIT2_EEPKiS8_PKS5_iiSA_S6_PS5_21rocsparse_index_base_b.kd
    .uniform_work_group_size: 1
    .uses_dynamic_stack: false
    .vgpr_count:     24
    .vgpr_spill_count: 0
    .wavefront_size: 32
  - .args:
      - .offset:         0
        .size:           4
        .value_kind:     by_value
      - .offset:         4
        .size:           4
        .value_kind:     by_value
      - .offset:         8
        .size:           16
        .value_kind:     by_value
      - .actual_access:  read_only
        .address_space:  global
        .offset:         24
        .size:           8
        .value_kind:     global_buffer
      - .actual_access:  read_only
        .address_space:  global
        .offset:         32
        .size:           8
        .value_kind:     global_buffer
      - .actual_access:  read_only
        .address_space:  global
        .offset:         40
        .size:           8
        .value_kind:     global_buffer
      - .offset:         48
        .size:           4
        .value_kind:     by_value
      - .offset:         52
        .size:           4
        .value_kind:     by_value
      - .actual_access:  read_only
        .address_space:  global
        .offset:         56
        .size:           8
        .value_kind:     global_buffer
      - .offset:         64
        .size:           16
        .value_kind:     by_value
      - .address_space:  global
        .offset:         80
        .size:           8
        .value_kind:     global_buffer
      - .offset:         88
        .size:           4
        .value_kind:     by_value
      - .offset:         92
        .size:           1
        .value_kind:     by_value
    .group_segment_fixed_size: 896
    .kernarg_segment_align: 8
    .kernarg_segment_size: 96
    .language:       OpenCL C
    .language_version:
      - 2
      - 0
    .max_flat_workgroup_size: 56
    .name:           _ZN9rocsparseL22gebsrmvn_mxn_16_kernelILj56ELj14ELj2E21rocsparse_complex_numIdEEEvi20rocsparse_direction_NS_24const_host_device_scalarIT2_EEPKiS8_PKS5_iiSA_S6_PS5_21rocsparse_index_base_b
    .private_segment_fixed_size: 0
    .sgpr_count:     18
    .sgpr_spill_count: 0
    .symbol:         _ZN9rocsparseL22gebsrmvn_mxn_16_kernelILj56ELj14ELj2E21rocsparse_complex_numIdEEEvi20rocsparse_direction_NS_24const_host_device_scalarIT2_EEPKiS8_PKS5_iiSA_S6_PS5_21rocsparse_index_base_b.kd
    .uniform_work_group_size: 1
    .uses_dynamic_stack: false
    .vgpr_count:     26
    .vgpr_spill_count: 0
    .wavefront_size: 32
  - .args:
      - .offset:         0
        .size:           4
        .value_kind:     by_value
      - .offset:         4
        .size:           4
        .value_kind:     by_value
      - .offset:         8
        .size:           16
        .value_kind:     by_value
      - .actual_access:  read_only
        .address_space:  global
        .offset:         24
        .size:           8
        .value_kind:     global_buffer
      - .actual_access:  read_only
        .address_space:  global
        .offset:         32
        .size:           8
        .value_kind:     global_buffer
      - .actual_access:  read_only
        .address_space:  global
        .offset:         40
        .size:           8
        .value_kind:     global_buffer
      - .offset:         48
        .size:           4
        .value_kind:     by_value
      - .offset:         52
        .size:           4
        .value_kind:     by_value
      - .actual_access:  read_only
        .address_space:  global
        .offset:         56
        .size:           8
        .value_kind:     global_buffer
      - .offset:         64
        .size:           16
        .value_kind:     by_value
      - .address_space:  global
        .offset:         80
        .size:           8
        .value_kind:     global_buffer
      - .offset:         88
        .size:           4
        .value_kind:     by_value
      - .offset:         92
        .size:           1
        .value_kind:     by_value
    .group_segment_fixed_size: 672
    .kernarg_segment_align: 8
    .kernarg_segment_size: 96
    .language:       OpenCL C
    .language_version:
      - 2
      - 0
    .max_flat_workgroup_size: 42
    .name:           _ZN9rocsparseL22gebsrmvn_mxn_16_kernelILj42ELj14ELj3E21rocsparse_complex_numIdEEEvi20rocsparse_direction_NS_24const_host_device_scalarIT2_EEPKiS8_PKS5_iiSA_S6_PS5_21rocsparse_index_base_b
    .private_segment_fixed_size: 0
    .sgpr_count:     18
    .sgpr_spill_count: 0
    .symbol:         _ZN9rocsparseL22gebsrmvn_mxn_16_kernelILj42ELj14ELj3E21rocsparse_complex_numIdEEEvi20rocsparse_direction_NS_24const_host_device_scalarIT2_EEPKiS8_PKS5_iiSA_S6_PS5_21rocsparse_index_base_b.kd
    .uniform_work_group_size: 1
    .uses_dynamic_stack: false
    .vgpr_count:     26
    .vgpr_spill_count: 0
    .wavefront_size: 32
  - .args:
      - .offset:         0
        .size:           4
        .value_kind:     by_value
      - .offset:         4
        .size:           4
        .value_kind:     by_value
      - .offset:         8
        .size:           16
        .value_kind:     by_value
      - .actual_access:  read_only
        .address_space:  global
        .offset:         24
        .size:           8
        .value_kind:     global_buffer
      - .actual_access:  read_only
        .address_space:  global
        .offset:         32
        .size:           8
        .value_kind:     global_buffer
      - .actual_access:  read_only
        .address_space:  global
        .offset:         40
        .size:           8
        .value_kind:     global_buffer
      - .offset:         48
        .size:           4
        .value_kind:     by_value
      - .offset:         52
        .size:           4
        .value_kind:     by_value
      - .actual_access:  read_only
        .address_space:  global
        .offset:         56
        .size:           8
        .value_kind:     global_buffer
      - .offset:         64
        .size:           16
        .value_kind:     by_value
      - .address_space:  global
        .offset:         80
        .size:           8
        .value_kind:     global_buffer
      - .offset:         88
        .size:           4
        .value_kind:     by_value
      - .offset:         92
        .size:           1
        .value_kind:     by_value
    .group_segment_fixed_size: 896
    .kernarg_segment_align: 8
    .kernarg_segment_size: 96
    .language:       OpenCL C
    .language_version:
      - 2
      - 0
    .max_flat_workgroup_size: 56
    .name:           _ZN9rocsparseL22gebsrmvn_mxn_16_kernelILj56ELj14ELj4E21rocsparse_complex_numIdEEEvi20rocsparse_direction_NS_24const_host_device_scalarIT2_EEPKiS8_PKS5_iiSA_S6_PS5_21rocsparse_index_base_b
    .private_segment_fixed_size: 0
    .sgpr_count:     18
    .sgpr_spill_count: 0
    .symbol:         _ZN9rocsparseL22gebsrmvn_mxn_16_kernelILj56ELj14ELj4E21rocsparse_complex_numIdEEEvi20rocsparse_direction_NS_24const_host_device_scalarIT2_EEPKiS8_PKS5_iiSA_S6_PS5_21rocsparse_index_base_b.kd
    .uniform_work_group_size: 1
    .uses_dynamic_stack: false
    .vgpr_count:     26
    .vgpr_spill_count: 0
    .wavefront_size: 32
  - .args:
      - .offset:         0
        .size:           4
        .value_kind:     by_value
      - .offset:         4
        .size:           4
        .value_kind:     by_value
      - .offset:         8
        .size:           16
        .value_kind:     by_value
      - .actual_access:  read_only
        .address_space:  global
        .offset:         24
        .size:           8
        .value_kind:     global_buffer
      - .actual_access:  read_only
        .address_space:  global
        .offset:         32
        .size:           8
        .value_kind:     global_buffer
      - .actual_access:  read_only
        .address_space:  global
        .offset:         40
        .size:           8
        .value_kind:     global_buffer
      - .offset:         48
        .size:           4
        .value_kind:     by_value
      - .offset:         52
        .size:           4
        .value_kind:     by_value
      - .actual_access:  read_only
        .address_space:  global
        .offset:         56
        .size:           8
        .value_kind:     global_buffer
      - .offset:         64
        .size:           16
        .value_kind:     by_value
      - .address_space:  global
        .offset:         80
        .size:           8
        .value_kind:     global_buffer
      - .offset:         88
        .size:           4
        .value_kind:     by_value
      - .offset:         92
        .size:           1
        .value_kind:     by_value
    .group_segment_fixed_size: 1120
    .kernarg_segment_align: 8
    .kernarg_segment_size: 96
    .language:       OpenCL C
    .language_version:
      - 2
      - 0
    .max_flat_workgroup_size: 70
    .name:           _ZN9rocsparseL22gebsrmvn_mxn_16_kernelILj70ELj14ELj5E21rocsparse_complex_numIdEEEvi20rocsparse_direction_NS_24const_host_device_scalarIT2_EEPKiS8_PKS5_iiSA_S6_PS5_21rocsparse_index_base_b
    .private_segment_fixed_size: 0
    .sgpr_count:     18
    .sgpr_spill_count: 0
    .symbol:         _ZN9rocsparseL22gebsrmvn_mxn_16_kernelILj70ELj14ELj5E21rocsparse_complex_numIdEEEvi20rocsparse_direction_NS_24const_host_device_scalarIT2_EEPKiS8_PKS5_iiSA_S6_PS5_21rocsparse_index_base_b.kd
    .uniform_work_group_size: 1
    .uses_dynamic_stack: false
    .vgpr_count:     26
    .vgpr_spill_count: 0
    .wavefront_size: 32
  - .args:
      - .offset:         0
        .size:           4
        .value_kind:     by_value
      - .offset:         4
        .size:           4
        .value_kind:     by_value
      - .offset:         8
        .size:           16
        .value_kind:     by_value
      - .actual_access:  read_only
        .address_space:  global
        .offset:         24
        .size:           8
        .value_kind:     global_buffer
      - .actual_access:  read_only
        .address_space:  global
        .offset:         32
        .size:           8
        .value_kind:     global_buffer
      - .actual_access:  read_only
        .address_space:  global
        .offset:         40
        .size:           8
        .value_kind:     global_buffer
      - .offset:         48
        .size:           4
        .value_kind:     by_value
      - .offset:         52
        .size:           4
        .value_kind:     by_value
      - .actual_access:  read_only
        .address_space:  global
        .offset:         56
        .size:           8
        .value_kind:     global_buffer
      - .offset:         64
        .size:           16
        .value_kind:     by_value
      - .address_space:  global
        .offset:         80
        .size:           8
        .value_kind:     global_buffer
      - .offset:         88
        .size:           4
        .value_kind:     by_value
      - .offset:         92
        .size:           1
        .value_kind:     by_value
    .group_segment_fixed_size: 1344
    .kernarg_segment_align: 8
    .kernarg_segment_size: 96
    .language:       OpenCL C
    .language_version:
      - 2
      - 0
    .max_flat_workgroup_size: 84
    .name:           _ZN9rocsparseL22gebsrmvn_mxn_16_kernelILj84ELj14ELj6E21rocsparse_complex_numIdEEEvi20rocsparse_direction_NS_24const_host_device_scalarIT2_EEPKiS8_PKS5_iiSA_S6_PS5_21rocsparse_index_base_b
    .private_segment_fixed_size: 0
    .sgpr_count:     18
    .sgpr_spill_count: 0
    .symbol:         _ZN9rocsparseL22gebsrmvn_mxn_16_kernelILj84ELj14ELj6E21rocsparse_complex_numIdEEEvi20rocsparse_direction_NS_24const_host_device_scalarIT2_EEPKiS8_PKS5_iiSA_S6_PS5_21rocsparse_index_base_b.kd
    .uniform_work_group_size: 1
    .uses_dynamic_stack: false
    .vgpr_count:     26
    .vgpr_spill_count: 0
    .wavefront_size: 32
  - .args:
      - .offset:         0
        .size:           4
        .value_kind:     by_value
      - .offset:         4
        .size:           4
        .value_kind:     by_value
      - .offset:         8
        .size:           16
        .value_kind:     by_value
      - .actual_access:  read_only
        .address_space:  global
        .offset:         24
        .size:           8
        .value_kind:     global_buffer
      - .actual_access:  read_only
        .address_space:  global
        .offset:         32
        .size:           8
        .value_kind:     global_buffer
      - .actual_access:  read_only
        .address_space:  global
        .offset:         40
        .size:           8
        .value_kind:     global_buffer
      - .offset:         48
        .size:           4
        .value_kind:     by_value
      - .offset:         52
        .size:           4
        .value_kind:     by_value
      - .actual_access:  read_only
        .address_space:  global
        .offset:         56
        .size:           8
        .value_kind:     global_buffer
      - .offset:         64
        .size:           16
        .value_kind:     by_value
      - .address_space:  global
        .offset:         80
        .size:           8
        .value_kind:     global_buffer
      - .offset:         88
        .size:           4
        .value_kind:     by_value
      - .offset:         92
        .size:           1
        .value_kind:     by_value
    .group_segment_fixed_size: 1568
    .kernarg_segment_align: 8
    .kernarg_segment_size: 96
    .language:       OpenCL C
    .language_version:
      - 2
      - 0
    .max_flat_workgroup_size: 98
    .name:           _ZN9rocsparseL22gebsrmvn_mxn_16_kernelILj98ELj14ELj7E21rocsparse_complex_numIdEEEvi20rocsparse_direction_NS_24const_host_device_scalarIT2_EEPKiS8_PKS5_iiSA_S6_PS5_21rocsparse_index_base_b
    .private_segment_fixed_size: 0
    .sgpr_count:     18
    .sgpr_spill_count: 0
    .symbol:         _ZN9rocsparseL22gebsrmvn_mxn_16_kernelILj98ELj14ELj7E21rocsparse_complex_numIdEEEvi20rocsparse_direction_NS_24const_host_device_scalarIT2_EEPKiS8_PKS5_iiSA_S6_PS5_21rocsparse_index_base_b.kd
    .uniform_work_group_size: 1
    .uses_dynamic_stack: false
    .vgpr_count:     26
    .vgpr_spill_count: 0
    .wavefront_size: 32
  - .args:
      - .offset:         0
        .size:           4
        .value_kind:     by_value
      - .offset:         4
        .size:           4
        .value_kind:     by_value
      - .offset:         8
        .size:           16
        .value_kind:     by_value
      - .actual_access:  read_only
        .address_space:  global
        .offset:         24
        .size:           8
        .value_kind:     global_buffer
      - .actual_access:  read_only
        .address_space:  global
        .offset:         32
        .size:           8
        .value_kind:     global_buffer
      - .actual_access:  read_only
        .address_space:  global
        .offset:         40
        .size:           8
        .value_kind:     global_buffer
      - .offset:         48
        .size:           4
        .value_kind:     by_value
      - .offset:         52
        .size:           4
        .value_kind:     by_value
      - .actual_access:  read_only
        .address_space:  global
        .offset:         56
        .size:           8
        .value_kind:     global_buffer
      - .offset:         64
        .size:           16
        .value_kind:     by_value
      - .address_space:  global
        .offset:         80
        .size:           8
        .value_kind:     global_buffer
      - .offset:         88
        .size:           4
        .value_kind:     by_value
      - .offset:         92
        .size:           1
        .value_kind:     by_value
    .group_segment_fixed_size: 1792
    .kernarg_segment_align: 8
    .kernarg_segment_size: 96
    .language:       OpenCL C
    .language_version:
      - 2
      - 0
    .max_flat_workgroup_size: 112
    .name:           _ZN9rocsparseL22gebsrmvn_mxn_16_kernelILj112ELj14ELj8E21rocsparse_complex_numIdEEEvi20rocsparse_direction_NS_24const_host_device_scalarIT2_EEPKiS8_PKS5_iiSA_S6_PS5_21rocsparse_index_base_b
    .private_segment_fixed_size: 0
    .sgpr_count:     18
    .sgpr_spill_count: 0
    .symbol:         _ZN9rocsparseL22gebsrmvn_mxn_16_kernelILj112ELj14ELj8E21rocsparse_complex_numIdEEEvi20rocsparse_direction_NS_24const_host_device_scalarIT2_EEPKiS8_PKS5_iiSA_S6_PS5_21rocsparse_index_base_b.kd
    .uniform_work_group_size: 1
    .uses_dynamic_stack: false
    .vgpr_count:     26
    .vgpr_spill_count: 0
    .wavefront_size: 32
  - .args:
      - .offset:         0
        .size:           4
        .value_kind:     by_value
      - .offset:         4
        .size:           4
        .value_kind:     by_value
      - .offset:         8
        .size:           16
        .value_kind:     by_value
      - .actual_access:  read_only
        .address_space:  global
        .offset:         24
        .size:           8
        .value_kind:     global_buffer
      - .actual_access:  read_only
        .address_space:  global
        .offset:         32
        .size:           8
        .value_kind:     global_buffer
      - .actual_access:  read_only
        .address_space:  global
        .offset:         40
        .size:           8
        .value_kind:     global_buffer
      - .offset:         48
        .size:           4
        .value_kind:     by_value
      - .offset:         52
        .size:           4
        .value_kind:     by_value
      - .actual_access:  read_only
        .address_space:  global
        .offset:         56
        .size:           8
        .value_kind:     global_buffer
      - .offset:         64
        .size:           16
        .value_kind:     by_value
      - .address_space:  global
        .offset:         80
        .size:           8
        .value_kind:     global_buffer
      - .offset:         88
        .size:           4
        .value_kind:     by_value
      - .offset:         92
        .size:           1
        .value_kind:     by_value
    .group_segment_fixed_size: 960
    .kernarg_segment_align: 8
    .kernarg_segment_size: 96
    .language:       OpenCL C
    .language_version:
      - 2
      - 0
    .max_flat_workgroup_size: 60
    .name:           _ZN9rocsparseL22gebsrmvn_mxn_16_kernelILj60ELj15ELj1E21rocsparse_complex_numIdEEEvi20rocsparse_direction_NS_24const_host_device_scalarIT2_EEPKiS8_PKS5_iiSA_S6_PS5_21rocsparse_index_base_b
    .private_segment_fixed_size: 0
    .sgpr_count:     18
    .sgpr_spill_count: 0
    .symbol:         _ZN9rocsparseL22gebsrmvn_mxn_16_kernelILj60ELj15ELj1E21rocsparse_complex_numIdEEEvi20rocsparse_direction_NS_24const_host_device_scalarIT2_EEPKiS8_PKS5_iiSA_S6_PS5_21rocsparse_index_base_b.kd
    .uniform_work_group_size: 1
    .uses_dynamic_stack: false
    .vgpr_count:     24
    .vgpr_spill_count: 0
    .wavefront_size: 32
  - .args:
      - .offset:         0
        .size:           4
        .value_kind:     by_value
      - .offset:         4
        .size:           4
        .value_kind:     by_value
      - .offset:         8
        .size:           16
        .value_kind:     by_value
      - .actual_access:  read_only
        .address_space:  global
        .offset:         24
        .size:           8
        .value_kind:     global_buffer
      - .actual_access:  read_only
        .address_space:  global
        .offset:         32
        .size:           8
        .value_kind:     global_buffer
      - .actual_access:  read_only
        .address_space:  global
        .offset:         40
        .size:           8
        .value_kind:     global_buffer
      - .offset:         48
        .size:           4
        .value_kind:     by_value
      - .offset:         52
        .size:           4
        .value_kind:     by_value
      - .actual_access:  read_only
        .address_space:  global
        .offset:         56
        .size:           8
        .value_kind:     global_buffer
      - .offset:         64
        .size:           16
        .value_kind:     by_value
      - .address_space:  global
        .offset:         80
        .size:           8
        .value_kind:     global_buffer
      - .offset:         88
        .size:           4
        .value_kind:     by_value
      - .offset:         92
        .size:           1
        .value_kind:     by_value
    .group_segment_fixed_size: 960
    .kernarg_segment_align: 8
    .kernarg_segment_size: 96
    .language:       OpenCL C
    .language_version:
      - 2
      - 0
    .max_flat_workgroup_size: 60
    .name:           _ZN9rocsparseL22gebsrmvn_mxn_16_kernelILj60ELj15ELj2E21rocsparse_complex_numIdEEEvi20rocsparse_direction_NS_24const_host_device_scalarIT2_EEPKiS8_PKS5_iiSA_S6_PS5_21rocsparse_index_base_b
    .private_segment_fixed_size: 0
    .sgpr_count:     18
    .sgpr_spill_count: 0
    .symbol:         _ZN9rocsparseL22gebsrmvn_mxn_16_kernelILj60ELj15ELj2E21rocsparse_complex_numIdEEEvi20rocsparse_direction_NS_24const_host_device_scalarIT2_EEPKiS8_PKS5_iiSA_S6_PS5_21rocsparse_index_base_b.kd
    .uniform_work_group_size: 1
    .uses_dynamic_stack: false
    .vgpr_count:     26
    .vgpr_spill_count: 0
    .wavefront_size: 32
  - .args:
      - .offset:         0
        .size:           4
        .value_kind:     by_value
      - .offset:         4
        .size:           4
        .value_kind:     by_value
      - .offset:         8
        .size:           16
        .value_kind:     by_value
      - .actual_access:  read_only
        .address_space:  global
        .offset:         24
        .size:           8
        .value_kind:     global_buffer
      - .actual_access:  read_only
        .address_space:  global
        .offset:         32
        .size:           8
        .value_kind:     global_buffer
      - .actual_access:  read_only
        .address_space:  global
        .offset:         40
        .size:           8
        .value_kind:     global_buffer
      - .offset:         48
        .size:           4
        .value_kind:     by_value
      - .offset:         52
        .size:           4
        .value_kind:     by_value
      - .actual_access:  read_only
        .address_space:  global
        .offset:         56
        .size:           8
        .value_kind:     global_buffer
      - .offset:         64
        .size:           16
        .value_kind:     by_value
      - .address_space:  global
        .offset:         80
        .size:           8
        .value_kind:     global_buffer
      - .offset:         88
        .size:           4
        .value_kind:     by_value
      - .offset:         92
        .size:           1
        .value_kind:     by_value
    .group_segment_fixed_size: 720
    .kernarg_segment_align: 8
    .kernarg_segment_size: 96
    .language:       OpenCL C
    .language_version:
      - 2
      - 0
    .max_flat_workgroup_size: 45
    .name:           _ZN9rocsparseL22gebsrmvn_mxn_16_kernelILj45ELj15ELj3E21rocsparse_complex_numIdEEEvi20rocsparse_direction_NS_24const_host_device_scalarIT2_EEPKiS8_PKS5_iiSA_S6_PS5_21rocsparse_index_base_b
    .private_segment_fixed_size: 0
    .sgpr_count:     18
    .sgpr_spill_count: 0
    .symbol:         _ZN9rocsparseL22gebsrmvn_mxn_16_kernelILj45ELj15ELj3E21rocsparse_complex_numIdEEEvi20rocsparse_direction_NS_24const_host_device_scalarIT2_EEPKiS8_PKS5_iiSA_S6_PS5_21rocsparse_index_base_b.kd
    .uniform_work_group_size: 1
    .uses_dynamic_stack: false
    .vgpr_count:     26
    .vgpr_spill_count: 0
    .wavefront_size: 32
  - .args:
      - .offset:         0
        .size:           4
        .value_kind:     by_value
      - .offset:         4
        .size:           4
        .value_kind:     by_value
      - .offset:         8
        .size:           16
        .value_kind:     by_value
      - .actual_access:  read_only
        .address_space:  global
        .offset:         24
        .size:           8
        .value_kind:     global_buffer
      - .actual_access:  read_only
        .address_space:  global
        .offset:         32
        .size:           8
        .value_kind:     global_buffer
      - .actual_access:  read_only
        .address_space:  global
        .offset:         40
        .size:           8
        .value_kind:     global_buffer
      - .offset:         48
        .size:           4
        .value_kind:     by_value
      - .offset:         52
        .size:           4
        .value_kind:     by_value
      - .actual_access:  read_only
        .address_space:  global
        .offset:         56
        .size:           8
        .value_kind:     global_buffer
      - .offset:         64
        .size:           16
        .value_kind:     by_value
      - .address_space:  global
        .offset:         80
        .size:           8
        .value_kind:     global_buffer
      - .offset:         88
        .size:           4
        .value_kind:     by_value
      - .offset:         92
        .size:           1
        .value_kind:     by_value
    .group_segment_fixed_size: 960
    .kernarg_segment_align: 8
    .kernarg_segment_size: 96
    .language:       OpenCL C
    .language_version:
      - 2
      - 0
    .max_flat_workgroup_size: 60
    .name:           _ZN9rocsparseL22gebsrmvn_mxn_16_kernelILj60ELj15ELj4E21rocsparse_complex_numIdEEEvi20rocsparse_direction_NS_24const_host_device_scalarIT2_EEPKiS8_PKS5_iiSA_S6_PS5_21rocsparse_index_base_b
    .private_segment_fixed_size: 0
    .sgpr_count:     18
    .sgpr_spill_count: 0
    .symbol:         _ZN9rocsparseL22gebsrmvn_mxn_16_kernelILj60ELj15ELj4E21rocsparse_complex_numIdEEEvi20rocsparse_direction_NS_24const_host_device_scalarIT2_EEPKiS8_PKS5_iiSA_S6_PS5_21rocsparse_index_base_b.kd
    .uniform_work_group_size: 1
    .uses_dynamic_stack: false
    .vgpr_count:     26
    .vgpr_spill_count: 0
    .wavefront_size: 32
  - .args:
      - .offset:         0
        .size:           4
        .value_kind:     by_value
      - .offset:         4
        .size:           4
        .value_kind:     by_value
      - .offset:         8
        .size:           16
        .value_kind:     by_value
      - .actual_access:  read_only
        .address_space:  global
        .offset:         24
        .size:           8
        .value_kind:     global_buffer
      - .actual_access:  read_only
        .address_space:  global
        .offset:         32
        .size:           8
        .value_kind:     global_buffer
      - .actual_access:  read_only
        .address_space:  global
        .offset:         40
        .size:           8
        .value_kind:     global_buffer
      - .offset:         48
        .size:           4
        .value_kind:     by_value
      - .offset:         52
        .size:           4
        .value_kind:     by_value
      - .actual_access:  read_only
        .address_space:  global
        .offset:         56
        .size:           8
        .value_kind:     global_buffer
      - .offset:         64
        .size:           16
        .value_kind:     by_value
      - .address_space:  global
        .offset:         80
        .size:           8
        .value_kind:     global_buffer
      - .offset:         88
        .size:           4
        .value_kind:     by_value
      - .offset:         92
        .size:           1
        .value_kind:     by_value
    .group_segment_fixed_size: 1200
    .kernarg_segment_align: 8
    .kernarg_segment_size: 96
    .language:       OpenCL C
    .language_version:
      - 2
      - 0
    .max_flat_workgroup_size: 75
    .name:           _ZN9rocsparseL22gebsrmvn_mxn_16_kernelILj75ELj15ELj5E21rocsparse_complex_numIdEEEvi20rocsparse_direction_NS_24const_host_device_scalarIT2_EEPKiS8_PKS5_iiSA_S6_PS5_21rocsparse_index_base_b
    .private_segment_fixed_size: 0
    .sgpr_count:     18
    .sgpr_spill_count: 0
    .symbol:         _ZN9rocsparseL22gebsrmvn_mxn_16_kernelILj75ELj15ELj5E21rocsparse_complex_numIdEEEvi20rocsparse_direction_NS_24const_host_device_scalarIT2_EEPKiS8_PKS5_iiSA_S6_PS5_21rocsparse_index_base_b.kd
    .uniform_work_group_size: 1
    .uses_dynamic_stack: false
    .vgpr_count:     26
    .vgpr_spill_count: 0
    .wavefront_size: 32
  - .args:
      - .offset:         0
        .size:           4
        .value_kind:     by_value
      - .offset:         4
        .size:           4
        .value_kind:     by_value
      - .offset:         8
        .size:           16
        .value_kind:     by_value
      - .actual_access:  read_only
        .address_space:  global
        .offset:         24
        .size:           8
        .value_kind:     global_buffer
      - .actual_access:  read_only
        .address_space:  global
        .offset:         32
        .size:           8
        .value_kind:     global_buffer
      - .actual_access:  read_only
        .address_space:  global
        .offset:         40
        .size:           8
        .value_kind:     global_buffer
      - .offset:         48
        .size:           4
        .value_kind:     by_value
      - .offset:         52
        .size:           4
        .value_kind:     by_value
      - .actual_access:  read_only
        .address_space:  global
        .offset:         56
        .size:           8
        .value_kind:     global_buffer
      - .offset:         64
        .size:           16
        .value_kind:     by_value
      - .address_space:  global
        .offset:         80
        .size:           8
        .value_kind:     global_buffer
      - .offset:         88
        .size:           4
        .value_kind:     by_value
      - .offset:         92
        .size:           1
        .value_kind:     by_value
    .group_segment_fixed_size: 1440
    .kernarg_segment_align: 8
    .kernarg_segment_size: 96
    .language:       OpenCL C
    .language_version:
      - 2
      - 0
    .max_flat_workgroup_size: 90
    .name:           _ZN9rocsparseL22gebsrmvn_mxn_16_kernelILj90ELj15ELj6E21rocsparse_complex_numIdEEEvi20rocsparse_direction_NS_24const_host_device_scalarIT2_EEPKiS8_PKS5_iiSA_S6_PS5_21rocsparse_index_base_b
    .private_segment_fixed_size: 0
    .sgpr_count:     18
    .sgpr_spill_count: 0
    .symbol:         _ZN9rocsparseL22gebsrmvn_mxn_16_kernelILj90ELj15ELj6E21rocsparse_complex_numIdEEEvi20rocsparse_direction_NS_24const_host_device_scalarIT2_EEPKiS8_PKS5_iiSA_S6_PS5_21rocsparse_index_base_b.kd
    .uniform_work_group_size: 1
    .uses_dynamic_stack: false
    .vgpr_count:     26
    .vgpr_spill_count: 0
    .wavefront_size: 32
  - .args:
      - .offset:         0
        .size:           4
        .value_kind:     by_value
      - .offset:         4
        .size:           4
        .value_kind:     by_value
      - .offset:         8
        .size:           16
        .value_kind:     by_value
      - .actual_access:  read_only
        .address_space:  global
        .offset:         24
        .size:           8
        .value_kind:     global_buffer
      - .actual_access:  read_only
        .address_space:  global
        .offset:         32
        .size:           8
        .value_kind:     global_buffer
      - .actual_access:  read_only
        .address_space:  global
        .offset:         40
        .size:           8
        .value_kind:     global_buffer
      - .offset:         48
        .size:           4
        .value_kind:     by_value
      - .offset:         52
        .size:           4
        .value_kind:     by_value
      - .actual_access:  read_only
        .address_space:  global
        .offset:         56
        .size:           8
        .value_kind:     global_buffer
      - .offset:         64
        .size:           16
        .value_kind:     by_value
      - .address_space:  global
        .offset:         80
        .size:           8
        .value_kind:     global_buffer
      - .offset:         88
        .size:           4
        .value_kind:     by_value
      - .offset:         92
        .size:           1
        .value_kind:     by_value
    .group_segment_fixed_size: 1680
    .kernarg_segment_align: 8
    .kernarg_segment_size: 96
    .language:       OpenCL C
    .language_version:
      - 2
      - 0
    .max_flat_workgroup_size: 105
    .name:           _ZN9rocsparseL22gebsrmvn_mxn_16_kernelILj105ELj15ELj7E21rocsparse_complex_numIdEEEvi20rocsparse_direction_NS_24const_host_device_scalarIT2_EEPKiS8_PKS5_iiSA_S6_PS5_21rocsparse_index_base_b
    .private_segment_fixed_size: 0
    .sgpr_count:     18
    .sgpr_spill_count: 0
    .symbol:         _ZN9rocsparseL22gebsrmvn_mxn_16_kernelILj105ELj15ELj7E21rocsparse_complex_numIdEEEvi20rocsparse_direction_NS_24const_host_device_scalarIT2_EEPKiS8_PKS5_iiSA_S6_PS5_21rocsparse_index_base_b.kd
    .uniform_work_group_size: 1
    .uses_dynamic_stack: false
    .vgpr_count:     26
    .vgpr_spill_count: 0
    .wavefront_size: 32
  - .args:
      - .offset:         0
        .size:           4
        .value_kind:     by_value
      - .offset:         4
        .size:           4
        .value_kind:     by_value
      - .offset:         8
        .size:           16
        .value_kind:     by_value
      - .actual_access:  read_only
        .address_space:  global
        .offset:         24
        .size:           8
        .value_kind:     global_buffer
      - .actual_access:  read_only
        .address_space:  global
        .offset:         32
        .size:           8
        .value_kind:     global_buffer
      - .actual_access:  read_only
        .address_space:  global
        .offset:         40
        .size:           8
        .value_kind:     global_buffer
      - .offset:         48
        .size:           4
        .value_kind:     by_value
      - .offset:         52
        .size:           4
        .value_kind:     by_value
      - .actual_access:  read_only
        .address_space:  global
        .offset:         56
        .size:           8
        .value_kind:     global_buffer
      - .offset:         64
        .size:           16
        .value_kind:     by_value
      - .address_space:  global
        .offset:         80
        .size:           8
        .value_kind:     global_buffer
      - .offset:         88
        .size:           4
        .value_kind:     by_value
      - .offset:         92
        .size:           1
        .value_kind:     by_value
    .group_segment_fixed_size: 1920
    .kernarg_segment_align: 8
    .kernarg_segment_size: 96
    .language:       OpenCL C
    .language_version:
      - 2
      - 0
    .max_flat_workgroup_size: 120
    .name:           _ZN9rocsparseL22gebsrmvn_mxn_16_kernelILj120ELj15ELj8E21rocsparse_complex_numIdEEEvi20rocsparse_direction_NS_24const_host_device_scalarIT2_EEPKiS8_PKS5_iiSA_S6_PS5_21rocsparse_index_base_b
    .private_segment_fixed_size: 0
    .sgpr_count:     18
    .sgpr_spill_count: 0
    .symbol:         _ZN9rocsparseL22gebsrmvn_mxn_16_kernelILj120ELj15ELj8E21rocsparse_complex_numIdEEEvi20rocsparse_direction_NS_24const_host_device_scalarIT2_EEPKiS8_PKS5_iiSA_S6_PS5_21rocsparse_index_base_b.kd
    .uniform_work_group_size: 1
    .uses_dynamic_stack: false
    .vgpr_count:     26
    .vgpr_spill_count: 0
    .wavefront_size: 32
  - .args:
      - .offset:         0
        .size:           4
        .value_kind:     by_value
      - .offset:         4
        .size:           4
        .value_kind:     by_value
      - .offset:         8
        .size:           16
        .value_kind:     by_value
      - .actual_access:  read_only
        .address_space:  global
        .offset:         24
        .size:           8
        .value_kind:     global_buffer
      - .actual_access:  read_only
        .address_space:  global
        .offset:         32
        .size:           8
        .value_kind:     global_buffer
      - .actual_access:  read_only
        .address_space:  global
        .offset:         40
        .size:           8
        .value_kind:     global_buffer
      - .offset:         48
        .size:           4
        .value_kind:     by_value
      - .offset:         52
        .size:           4
        .value_kind:     by_value
      - .actual_access:  read_only
        .address_space:  global
        .offset:         56
        .size:           8
        .value_kind:     global_buffer
      - .offset:         64
        .size:           16
        .value_kind:     by_value
      - .address_space:  global
        .offset:         80
        .size:           8
        .value_kind:     global_buffer
      - .offset:         88
        .size:           4
        .value_kind:     by_value
      - .offset:         92
        .size:           1
        .value_kind:     by_value
    .group_segment_fixed_size: 1024
    .kernarg_segment_align: 8
    .kernarg_segment_size: 96
    .language:       OpenCL C
    .language_version:
      - 2
      - 0
    .max_flat_workgroup_size: 64
    .name:           _ZN9rocsparseL22gebsrmvn_mxn_16_kernelILj64ELj16ELj1E21rocsparse_complex_numIdEEEvi20rocsparse_direction_NS_24const_host_device_scalarIT2_EEPKiS8_PKS5_iiSA_S6_PS5_21rocsparse_index_base_b
    .private_segment_fixed_size: 0
    .sgpr_count:     18
    .sgpr_spill_count: 0
    .symbol:         _ZN9rocsparseL22gebsrmvn_mxn_16_kernelILj64ELj16ELj1E21rocsparse_complex_numIdEEEvi20rocsparse_direction_NS_24const_host_device_scalarIT2_EEPKiS8_PKS5_iiSA_S6_PS5_21rocsparse_index_base_b.kd
    .uniform_work_group_size: 1
    .uses_dynamic_stack: false
    .vgpr_count:     24
    .vgpr_spill_count: 0
    .wavefront_size: 32
  - .args:
      - .offset:         0
        .size:           4
        .value_kind:     by_value
      - .offset:         4
        .size:           4
        .value_kind:     by_value
      - .offset:         8
        .size:           16
        .value_kind:     by_value
      - .actual_access:  read_only
        .address_space:  global
        .offset:         24
        .size:           8
        .value_kind:     global_buffer
      - .actual_access:  read_only
        .address_space:  global
        .offset:         32
        .size:           8
        .value_kind:     global_buffer
      - .actual_access:  read_only
        .address_space:  global
        .offset:         40
        .size:           8
        .value_kind:     global_buffer
      - .offset:         48
        .size:           4
        .value_kind:     by_value
      - .offset:         52
        .size:           4
        .value_kind:     by_value
      - .actual_access:  read_only
        .address_space:  global
        .offset:         56
        .size:           8
        .value_kind:     global_buffer
      - .offset:         64
        .size:           16
        .value_kind:     by_value
      - .address_space:  global
        .offset:         80
        .size:           8
        .value_kind:     global_buffer
      - .offset:         88
        .size:           4
        .value_kind:     by_value
      - .offset:         92
        .size:           1
        .value_kind:     by_value
    .group_segment_fixed_size: 1024
    .kernarg_segment_align: 8
    .kernarg_segment_size: 96
    .language:       OpenCL C
    .language_version:
      - 2
      - 0
    .max_flat_workgroup_size: 64
    .name:           _ZN9rocsparseL22gebsrmvn_mxn_16_kernelILj64ELj16ELj2E21rocsparse_complex_numIdEEEvi20rocsparse_direction_NS_24const_host_device_scalarIT2_EEPKiS8_PKS5_iiSA_S6_PS5_21rocsparse_index_base_b
    .private_segment_fixed_size: 0
    .sgpr_count:     18
    .sgpr_spill_count: 0
    .symbol:         _ZN9rocsparseL22gebsrmvn_mxn_16_kernelILj64ELj16ELj2E21rocsparse_complex_numIdEEEvi20rocsparse_direction_NS_24const_host_device_scalarIT2_EEPKiS8_PKS5_iiSA_S6_PS5_21rocsparse_index_base_b.kd
    .uniform_work_group_size: 1
    .uses_dynamic_stack: false
    .vgpr_count:     26
    .vgpr_spill_count: 0
    .wavefront_size: 32
  - .args:
      - .offset:         0
        .size:           4
        .value_kind:     by_value
      - .offset:         4
        .size:           4
        .value_kind:     by_value
      - .offset:         8
        .size:           16
        .value_kind:     by_value
      - .actual_access:  read_only
        .address_space:  global
        .offset:         24
        .size:           8
        .value_kind:     global_buffer
      - .actual_access:  read_only
        .address_space:  global
        .offset:         32
        .size:           8
        .value_kind:     global_buffer
      - .actual_access:  read_only
        .address_space:  global
        .offset:         40
        .size:           8
        .value_kind:     global_buffer
      - .offset:         48
        .size:           4
        .value_kind:     by_value
      - .offset:         52
        .size:           4
        .value_kind:     by_value
      - .actual_access:  read_only
        .address_space:  global
        .offset:         56
        .size:           8
        .value_kind:     global_buffer
      - .offset:         64
        .size:           16
        .value_kind:     by_value
      - .address_space:  global
        .offset:         80
        .size:           8
        .value_kind:     global_buffer
      - .offset:         88
        .size:           4
        .value_kind:     by_value
      - .offset:         92
        .size:           1
        .value_kind:     by_value
    .group_segment_fixed_size: 768
    .kernarg_segment_align: 8
    .kernarg_segment_size: 96
    .language:       OpenCL C
    .language_version:
      - 2
      - 0
    .max_flat_workgroup_size: 48
    .name:           _ZN9rocsparseL22gebsrmvn_mxn_16_kernelILj48ELj16ELj3E21rocsparse_complex_numIdEEEvi20rocsparse_direction_NS_24const_host_device_scalarIT2_EEPKiS8_PKS5_iiSA_S6_PS5_21rocsparse_index_base_b
    .private_segment_fixed_size: 0
    .sgpr_count:     18
    .sgpr_spill_count: 0
    .symbol:         _ZN9rocsparseL22gebsrmvn_mxn_16_kernelILj48ELj16ELj3E21rocsparse_complex_numIdEEEvi20rocsparse_direction_NS_24const_host_device_scalarIT2_EEPKiS8_PKS5_iiSA_S6_PS5_21rocsparse_index_base_b.kd
    .uniform_work_group_size: 1
    .uses_dynamic_stack: false
    .vgpr_count:     26
    .vgpr_spill_count: 0
    .wavefront_size: 32
  - .args:
      - .offset:         0
        .size:           4
        .value_kind:     by_value
      - .offset:         4
        .size:           4
        .value_kind:     by_value
      - .offset:         8
        .size:           16
        .value_kind:     by_value
      - .actual_access:  read_only
        .address_space:  global
        .offset:         24
        .size:           8
        .value_kind:     global_buffer
      - .actual_access:  read_only
        .address_space:  global
        .offset:         32
        .size:           8
        .value_kind:     global_buffer
      - .actual_access:  read_only
        .address_space:  global
        .offset:         40
        .size:           8
        .value_kind:     global_buffer
      - .offset:         48
        .size:           4
        .value_kind:     by_value
      - .offset:         52
        .size:           4
        .value_kind:     by_value
      - .actual_access:  read_only
        .address_space:  global
        .offset:         56
        .size:           8
        .value_kind:     global_buffer
      - .offset:         64
        .size:           16
        .value_kind:     by_value
      - .address_space:  global
        .offset:         80
        .size:           8
        .value_kind:     global_buffer
      - .offset:         88
        .size:           4
        .value_kind:     by_value
      - .offset:         92
        .size:           1
        .value_kind:     by_value
    .group_segment_fixed_size: 1024
    .kernarg_segment_align: 8
    .kernarg_segment_size: 96
    .language:       OpenCL C
    .language_version:
      - 2
      - 0
    .max_flat_workgroup_size: 64
    .name:           _ZN9rocsparseL22gebsrmvn_mxn_16_kernelILj64ELj16ELj4E21rocsparse_complex_numIdEEEvi20rocsparse_direction_NS_24const_host_device_scalarIT2_EEPKiS8_PKS5_iiSA_S6_PS5_21rocsparse_index_base_b
    .private_segment_fixed_size: 0
    .sgpr_count:     18
    .sgpr_spill_count: 0
    .symbol:         _ZN9rocsparseL22gebsrmvn_mxn_16_kernelILj64ELj16ELj4E21rocsparse_complex_numIdEEEvi20rocsparse_direction_NS_24const_host_device_scalarIT2_EEPKiS8_PKS5_iiSA_S6_PS5_21rocsparse_index_base_b.kd
    .uniform_work_group_size: 1
    .uses_dynamic_stack: false
    .vgpr_count:     25
    .vgpr_spill_count: 0
    .wavefront_size: 32
  - .args:
      - .offset:         0
        .size:           4
        .value_kind:     by_value
      - .offset:         4
        .size:           4
        .value_kind:     by_value
      - .offset:         8
        .size:           16
        .value_kind:     by_value
      - .actual_access:  read_only
        .address_space:  global
        .offset:         24
        .size:           8
        .value_kind:     global_buffer
      - .actual_access:  read_only
        .address_space:  global
        .offset:         32
        .size:           8
        .value_kind:     global_buffer
      - .actual_access:  read_only
        .address_space:  global
        .offset:         40
        .size:           8
        .value_kind:     global_buffer
      - .offset:         48
        .size:           4
        .value_kind:     by_value
      - .offset:         52
        .size:           4
        .value_kind:     by_value
      - .actual_access:  read_only
        .address_space:  global
        .offset:         56
        .size:           8
        .value_kind:     global_buffer
      - .offset:         64
        .size:           16
        .value_kind:     by_value
      - .address_space:  global
        .offset:         80
        .size:           8
        .value_kind:     global_buffer
      - .offset:         88
        .size:           4
        .value_kind:     by_value
      - .offset:         92
        .size:           1
        .value_kind:     by_value
    .group_segment_fixed_size: 1280
    .kernarg_segment_align: 8
    .kernarg_segment_size: 96
    .language:       OpenCL C
    .language_version:
      - 2
      - 0
    .max_flat_workgroup_size: 80
    .name:           _ZN9rocsparseL22gebsrmvn_mxn_16_kernelILj80ELj16ELj5E21rocsparse_complex_numIdEEEvi20rocsparse_direction_NS_24const_host_device_scalarIT2_EEPKiS8_PKS5_iiSA_S6_PS5_21rocsparse_index_base_b
    .private_segment_fixed_size: 0
    .sgpr_count:     18
    .sgpr_spill_count: 0
    .symbol:         _ZN9rocsparseL22gebsrmvn_mxn_16_kernelILj80ELj16ELj5E21rocsparse_complex_numIdEEEvi20rocsparse_direction_NS_24const_host_device_scalarIT2_EEPKiS8_PKS5_iiSA_S6_PS5_21rocsparse_index_base_b.kd
    .uniform_work_group_size: 1
    .uses_dynamic_stack: false
    .vgpr_count:     26
    .vgpr_spill_count: 0
    .wavefront_size: 32
  - .args:
      - .offset:         0
        .size:           4
        .value_kind:     by_value
      - .offset:         4
        .size:           4
        .value_kind:     by_value
      - .offset:         8
        .size:           16
        .value_kind:     by_value
      - .actual_access:  read_only
        .address_space:  global
        .offset:         24
        .size:           8
        .value_kind:     global_buffer
      - .actual_access:  read_only
        .address_space:  global
        .offset:         32
        .size:           8
        .value_kind:     global_buffer
      - .actual_access:  read_only
        .address_space:  global
        .offset:         40
        .size:           8
        .value_kind:     global_buffer
      - .offset:         48
        .size:           4
        .value_kind:     by_value
      - .offset:         52
        .size:           4
        .value_kind:     by_value
      - .actual_access:  read_only
        .address_space:  global
        .offset:         56
        .size:           8
        .value_kind:     global_buffer
      - .offset:         64
        .size:           16
        .value_kind:     by_value
      - .address_space:  global
        .offset:         80
        .size:           8
        .value_kind:     global_buffer
      - .offset:         88
        .size:           4
        .value_kind:     by_value
      - .offset:         92
        .size:           1
        .value_kind:     by_value
    .group_segment_fixed_size: 1536
    .kernarg_segment_align: 8
    .kernarg_segment_size: 96
    .language:       OpenCL C
    .language_version:
      - 2
      - 0
    .max_flat_workgroup_size: 96
    .name:           _ZN9rocsparseL22gebsrmvn_mxn_16_kernelILj96ELj16ELj6E21rocsparse_complex_numIdEEEvi20rocsparse_direction_NS_24const_host_device_scalarIT2_EEPKiS8_PKS5_iiSA_S6_PS5_21rocsparse_index_base_b
    .private_segment_fixed_size: 0
    .sgpr_count:     18
    .sgpr_spill_count: 0
    .symbol:         _ZN9rocsparseL22gebsrmvn_mxn_16_kernelILj96ELj16ELj6E21rocsparse_complex_numIdEEEvi20rocsparse_direction_NS_24const_host_device_scalarIT2_EEPKiS8_PKS5_iiSA_S6_PS5_21rocsparse_index_base_b.kd
    .uniform_work_group_size: 1
    .uses_dynamic_stack: false
    .vgpr_count:     26
    .vgpr_spill_count: 0
    .wavefront_size: 32
  - .args:
      - .offset:         0
        .size:           4
        .value_kind:     by_value
      - .offset:         4
        .size:           4
        .value_kind:     by_value
      - .offset:         8
        .size:           16
        .value_kind:     by_value
      - .actual_access:  read_only
        .address_space:  global
        .offset:         24
        .size:           8
        .value_kind:     global_buffer
      - .actual_access:  read_only
        .address_space:  global
        .offset:         32
        .size:           8
        .value_kind:     global_buffer
      - .actual_access:  read_only
        .address_space:  global
        .offset:         40
        .size:           8
        .value_kind:     global_buffer
      - .offset:         48
        .size:           4
        .value_kind:     by_value
      - .offset:         52
        .size:           4
        .value_kind:     by_value
      - .actual_access:  read_only
        .address_space:  global
        .offset:         56
        .size:           8
        .value_kind:     global_buffer
      - .offset:         64
        .size:           16
        .value_kind:     by_value
      - .address_space:  global
        .offset:         80
        .size:           8
        .value_kind:     global_buffer
      - .offset:         88
        .size:           4
        .value_kind:     by_value
      - .offset:         92
        .size:           1
        .value_kind:     by_value
    .group_segment_fixed_size: 1792
    .kernarg_segment_align: 8
    .kernarg_segment_size: 96
    .language:       OpenCL C
    .language_version:
      - 2
      - 0
    .max_flat_workgroup_size: 112
    .name:           _ZN9rocsparseL22gebsrmvn_mxn_16_kernelILj112ELj16ELj7E21rocsparse_complex_numIdEEEvi20rocsparse_direction_NS_24const_host_device_scalarIT2_EEPKiS8_PKS5_iiSA_S6_PS5_21rocsparse_index_base_b
    .private_segment_fixed_size: 0
    .sgpr_count:     18
    .sgpr_spill_count: 0
    .symbol:         _ZN9rocsparseL22gebsrmvn_mxn_16_kernelILj112ELj16ELj7E21rocsparse_complex_numIdEEEvi20rocsparse_direction_NS_24const_host_device_scalarIT2_EEPKiS8_PKS5_iiSA_S6_PS5_21rocsparse_index_base_b.kd
    .uniform_work_group_size: 1
    .uses_dynamic_stack: false
    .vgpr_count:     26
    .vgpr_spill_count: 0
    .wavefront_size: 32
  - .args:
      - .offset:         0
        .size:           4
        .value_kind:     by_value
      - .offset:         4
        .size:           4
        .value_kind:     by_value
      - .offset:         8
        .size:           16
        .value_kind:     by_value
      - .actual_access:  read_only
        .address_space:  global
        .offset:         24
        .size:           8
        .value_kind:     global_buffer
      - .actual_access:  read_only
        .address_space:  global
        .offset:         32
        .size:           8
        .value_kind:     global_buffer
      - .actual_access:  read_only
        .address_space:  global
        .offset:         40
        .size:           8
        .value_kind:     global_buffer
      - .offset:         48
        .size:           4
        .value_kind:     by_value
      - .offset:         52
        .size:           4
        .value_kind:     by_value
      - .actual_access:  read_only
        .address_space:  global
        .offset:         56
        .size:           8
        .value_kind:     global_buffer
      - .offset:         64
        .size:           16
        .value_kind:     by_value
      - .address_space:  global
        .offset:         80
        .size:           8
        .value_kind:     global_buffer
      - .offset:         88
        .size:           4
        .value_kind:     by_value
      - .offset:         92
        .size:           1
        .value_kind:     by_value
    .group_segment_fixed_size: 2048
    .kernarg_segment_align: 8
    .kernarg_segment_size: 96
    .language:       OpenCL C
    .language_version:
      - 2
      - 0
    .max_flat_workgroup_size: 128
    .name:           _ZN9rocsparseL22gebsrmvn_mxn_16_kernelILj128ELj16ELj8E21rocsparse_complex_numIdEEEvi20rocsparse_direction_NS_24const_host_device_scalarIT2_EEPKiS8_PKS5_iiSA_S6_PS5_21rocsparse_index_base_b
    .private_segment_fixed_size: 0
    .sgpr_count:     18
    .sgpr_spill_count: 0
    .symbol:         _ZN9rocsparseL22gebsrmvn_mxn_16_kernelILj128ELj16ELj8E21rocsparse_complex_numIdEEEvi20rocsparse_direction_NS_24const_host_device_scalarIT2_EEPKiS8_PKS5_iiSA_S6_PS5_21rocsparse_index_base_b.kd
    .uniform_work_group_size: 1
    .uses_dynamic_stack: false
    .vgpr_count:     25
    .vgpr_spill_count: 0
    .wavefront_size: 32
amdhsa.target:   amdgcn-amd-amdhsa--gfx1250
amdhsa.version:
  - 1
  - 2
...

	.end_amdgpu_metadata
